;; amdgpu-corpus repo=ROCm/rocFFT kind=compiled arch=gfx1030 opt=O3
	.text
	.amdgcn_target "amdgcn-amd-amdhsa--gfx1030"
	.amdhsa_code_object_version 6
	.protected	bluestein_single_fwd_len224_dim1_dp_op_CI_CI ; -- Begin function bluestein_single_fwd_len224_dim1_dp_op_CI_CI
	.globl	bluestein_single_fwd_len224_dim1_dp_op_CI_CI
	.p2align	8
	.type	bluestein_single_fwd_len224_dim1_dp_op_CI_CI,@function
bluestein_single_fwd_len224_dim1_dp_op_CI_CI: ; @bluestein_single_fwd_len224_dim1_dp_op_CI_CI
; %bb.0:
	s_load_dwordx4 s[16:19], s[4:5], 0x28
	v_lshrrev_b32_e32 v56, 4, v0
	s_mov_b64 s[38:39], s[2:3]
	s_mov_b64 s[36:37], s[0:1]
	v_mov_b32_e32 v64, 0
	s_add_u32 s36, s36, s7
	v_lshl_or_b32 v63, s6, 2, v56
	s_addc_u32 s37, s37, 0
	s_mov_b32 s0, exec_lo
	s_waitcnt lgkmcnt(0)
	v_cmpx_gt_u64_e64 s[16:17], v[63:64]
	s_cbranch_execz .LBB0_2
; %bb.1:
	s_clause 0x1
	s_load_dwordx4 s[0:3], s[4:5], 0x18
	s_load_dwordx4 s[8:11], s[4:5], 0x0
	v_and_b32_e32 v204, 15, v0
	s_mov_b32 s23, 0xbfe11646
	s_mov_b32 s22, 0xe976ee23
	;; [unrolled: 1-line block ×4, first 2 shown]
	v_lshlrev_b32_e32 v202, 4, v204
	s_mov_b32 s27, 0x3fe948f6
	s_mov_b32 s20, 0x5476071b
	;; [unrolled: 1-line block ×4, first 2 shown]
	v_or_b32_e32 v8, 0x800, v202
	s_mov_b32 s29, 0xbfe77f67
	s_mov_b32 s31, 0x3fd5d0dc
	;; [unrolled: 1-line block ×5, first 2 shown]
	s_waitcnt lgkmcnt(0)
	s_load_dwordx4 s[12:15], s[0:1], 0x0
	s_add_u32 s6, s8, 0xe00
	s_addc_u32 s7, s9, 0
	global_load_dwordx4 v[14:17], v202, s[8:9] offset:512
	s_waitcnt lgkmcnt(0)
	v_mad_u64_u32 v[0:1], null, s14, v63, 0
	v_mad_u64_u32 v[2:3], null, s12, v204, 0
	s_lshl_b64 s[0:1], s[12:13], 9
	s_mov_b32 s14, 0x37c3f68c
	v_mad_u64_u32 v[4:5], null, s15, v63, v[1:2]
	s_mov_b32 s15, 0x3fdc38aa
	v_mad_u64_u32 v[5:6], null, s13, v204, v[3:4]
	v_mov_b32_e32 v1, v4
	s_mulk_i32 s13, 0xf500
	v_lshlrev_b64 v[0:1], 4, v[0:1]
	v_mov_b32_e32 v3, v5
	global_load_dwordx4 v[4:7], v202, s[8:9]
	v_add_co_u32 v0, vcc_lo, s18, v0
	v_lshlrev_b64 v[2:3], 4, v[2:3]
	v_add_co_ci_u32_e32 v1, vcc_lo, s19, v1, vcc_lo
	s_mov_b32 s18, 0x429ad128
	s_mov_b32 s19, 0xbfebfeb5
	;; [unrolled: 1-line block ×3, first 2 shown]
	v_add_co_u32 v0, vcc_lo, v0, v2
	v_add_co_ci_u32_e32 v1, vcc_lo, v1, v3, vcc_lo
	v_add_co_u32 v2, vcc_lo, v0, s0
	v_add_co_ci_u32_e32 v3, vcc_lo, s1, v1, vcc_lo
	global_load_dwordx4 v[36:39], v[0:1], off
	v_add_co_u32 v12, vcc_lo, v2, s0
	v_add_co_ci_u32_e32 v13, vcc_lo, s1, v3, vcc_lo
	global_load_dwordx4 v[32:35], v[2:3], off
	global_load_dwordx4 v[18:21], v202, s[8:9] offset:1024
	global_load_dwordx4 v[40:43], v[12:13], off
	v_add_co_u32 v0, vcc_lo, v12, s0
	v_add_co_ci_u32_e32 v1, vcc_lo, s1, v13, vcc_lo
	buffer_store_dword v8, off, s[36:39], 0 offset:168 ; 4-byte Folded Spill
	v_add_co_u32 v2, vcc_lo, v0, s0
	v_add_co_ci_u32_e32 v3, vcc_lo, s1, v1, vcc_lo
	global_load_dwordx4 v[26:29], v202, s[8:9] offset:1536
	global_load_dwordx4 v[44:47], v[0:1], off
	global_load_dwordx4 v[22:25], v8, s[8:9]
	global_load_dwordx4 v[48:51], v[2:3], off
	s_clause 0x2
	global_load_dwordx4 v[52:55], v202, s[8:9] offset:256
	global_load_dwordx4 v[96:99], v202, s[8:9] offset:768
	;; [unrolled: 1-line block ×3, first 2 shown]
	v_add_co_u32 v2, vcc_lo, v2, s0
	v_add_co_ci_u32_e32 v3, vcc_lo, s1, v3, vcc_lo
	s_waitcnt vmcnt(12)
	v_mov_b32_e32 v68, v17
	v_mov_b32_e32 v67, v16
	;; [unrolled: 1-line block ×4, first 2 shown]
	s_waitcnt vmcnt(11)
	v_mov_b32_e32 v9, v7
	v_mov_b32_e32 v8, v6
	;; [unrolled: 1-line block ×8, first 2 shown]
	s_waitcnt vmcnt(10)
	v_mul_f64 v[0:1], v[38:39], v[8:9]
	v_mul_f64 v[4:5], v[36:37], v[8:9]
	s_waitcnt vmcnt(9)
	v_mul_f64 v[6:7], v[34:35], v[16:17]
	v_mul_f64 v[8:9], v[32:33], v[16:17]
	v_mov_b32_e32 v14, v57
	v_mov_b32_e32 v15, v58
	;; [unrolled: 1-line block ×4, first 2 shown]
	s_waitcnt vmcnt(7)
	v_mul_f64 v[10:11], v[42:43], v[20:21]
	v_mul_f64 v[12:13], v[40:41], v[20:21]
	buffer_store_dword v18, off, s[36:39], 0 offset:112 ; 4-byte Folded Spill
	buffer_store_dword v19, off, s[36:39], 0 offset:116 ; 4-byte Folded Spill
	;; [unrolled: 1-line block ×8, first 2 shown]
	v_fma_f64 v[72:73], v[40:41], v[18:19], v[10:11]
	v_or_b32_e32 v10, 0xa00, v202
	v_fma_f64 v[57:58], v[36:37], v[14:15], v[0:1]
	v_fma_f64 v[59:60], v[38:39], v[14:15], -v[4:5]
	global_load_dwordx4 v[36:39], v202, s[8:9] offset:1792
	s_waitcnt vmcnt(7)
	buffer_store_dword v26, off, s[36:39], 0 offset:80 ; 4-byte Folded Spill
	buffer_store_dword v27, off, s[36:39], 0 offset:84 ; 4-byte Folded Spill
	;; [unrolled: 1-line block ×8, first 2 shown]
	s_waitcnt vmcnt(5)
	buffer_store_dword v22, off, s[36:39], 0 offset:32 ; 4-byte Folded Spill
	buffer_store_dword v23, off, s[36:39], 0 offset:36 ; 4-byte Folded Spill
	;; [unrolled: 1-line block ×4, first 2 shown]
	global_load_dwordx4 v[221:224], v10, s[8:9]
	buffer_store_dword v10, off, s[36:39], 0 offset:172 ; 4-byte Folded Spill
	v_fma_f64 v[74:75], v[42:43], v[18:19], -v[12:13]
	v_mul_u32_u24_e32 v67, 0xe0, v56
	v_lshl_or_b32 v200, v67, 4, v202
	v_mul_f64 v[0:1], v[46:47], v[28:29]
	v_fma_f64 v[68:69], v[32:33], v[65:66], v[6:7]
	v_fma_f64 v[70:71], v[34:35], v[65:66], -v[8:9]
	global_load_dwordx4 v[32:35], v[2:3], off
	v_mul_f64 v[4:5], v[44:45], v[28:29]
	s_waitcnt vmcnt(6)
	v_mul_f64 v[8:9], v[48:49], v[24:25]
	v_mul_f64 v[6:7], v[50:51], v[24:25]
	v_fma_f64 v[76:77], v[44:45], v[26:27], v[0:1]
	v_fma_f64 v[78:79], v[46:47], v[26:27], -v[4:5]
	v_fma_f64 v[82:83], v[50:51], v[22:23], -v[8:9]
	v_or_b32_e32 v50, 0xc00, v202
	v_fma_f64 v[80:81], v[48:49], v[22:23], v[6:7]
	s_waitcnt vmcnt(4)
	v_mov_b32_e32 v6, v96
	v_mov_b32_e32 v7, v97
	;; [unrolled: 1-line block ×4, first 2 shown]
	v_or_b32_e32 v51, 0xb00, v202
	v_or_b32_e32 v49, 0xd00, v202
	v_mul_u32_u24_e32 v48, 7, v204
	v_add_lshl_u32 v203, v67, v48, 4
	s_waitcnt vmcnt(0)
	v_mul_f64 v[0:1], v[34:35], v[223:224]
	v_mul_f64 v[4:5], v[32:33], v[223:224]
	v_fma_f64 v[84:85], v[32:33], v[221:222], v[0:1]
	v_add_co_u32 v0, vcc_lo, v2, s0
	v_add_co_ci_u32_e32 v1, vcc_lo, s1, v3, vcc_lo
	v_fma_f64 v[86:87], v[34:35], v[221:222], -v[4:5]
	global_load_dwordx4 v[217:220], v50, s[8:9]
	global_load_dwordx4 v[32:35], v[0:1], off
	v_mad_u64_u32 v[0:1], null, 0xfffff500, s12, v[0:1]
	s_sub_i32 s12, s13, s12
	v_add_nc_u32_e32 v1, s12, v1
	s_mov_b32 s12, 0x36b3c0b5
	s_mov_b32 s13, 0x3fac98ee
	s_waitcnt vmcnt(0)
	v_mul_f64 v[2:3], v[34:35], v[219:220]
	v_mul_f64 v[4:5], v[32:33], v[219:220]
	v_fma_f64 v[88:89], v[32:33], v[217:218], v[2:3]
	v_fma_f64 v[90:91], v[34:35], v[217:218], -v[4:5]
	global_load_dwordx4 v[32:35], v[0:1], off
	buffer_store_dword v52, off, s[36:39], 0 offset:16 ; 4-byte Folded Spill
	buffer_store_dword v53, off, s[36:39], 0 offset:20 ; 4-byte Folded Spill
	;; [unrolled: 1-line block ×4, first 2 shown]
	v_add_co_u32 v0, vcc_lo, v0, s0
	v_add_co_ci_u32_e32 v1, vcc_lo, s1, v1, vcc_lo
	s_waitcnt vmcnt(0)
	v_mul_f64 v[2:3], v[34:35], v[54:55]
	v_mul_f64 v[4:5], v[32:33], v[54:55]
	v_fma_f64 v[92:93], v[32:33], v[52:53], v[2:3]
	v_fma_f64 v[94:95], v[34:35], v[52:53], -v[4:5]
	global_load_dwordx4 v[32:35], v[0:1], off
	buffer_store_dword v6, off, s[36:39], 0 offset:48 ; 4-byte Folded Spill
	buffer_store_dword v7, off, s[36:39], 0 offset:52 ; 4-byte Folded Spill
	;; [unrolled: 1-line block ×4, first 2 shown]
	v_add_co_u32 v0, vcc_lo, v0, s0
	v_add_co_ci_u32_e32 v1, vcc_lo, s1, v1, vcc_lo
	v_or_b32_e32 v52, 0x900, v202
	s_waitcnt vmcnt(0)
	v_mul_f64 v[2:3], v[34:35], v[8:9]
	v_mul_f64 v[4:5], v[32:33], v[8:9]
	v_fma_f64 v[96:97], v[32:33], v[6:7], v[2:3]
	v_fma_f64 v[98:99], v[34:35], v[6:7], -v[4:5]
	v_mov_b32_e32 v6, v100
	v_mov_b32_e32 v7, v101
	;; [unrolled: 1-line block ×4, first 2 shown]
	global_load_dwordx4 v[32:35], v[0:1], off
	buffer_store_dword v6, off, s[36:39], 0 offset:64 ; 4-byte Folded Spill
	buffer_store_dword v7, off, s[36:39], 0 offset:68 ; 4-byte Folded Spill
	;; [unrolled: 1-line block ×4, first 2 shown]
	v_add_co_u32 v0, vcc_lo, v0, s0
	v_add_co_ci_u32_e32 v1, vcc_lo, s1, v1, vcc_lo
	s_waitcnt vmcnt(0)
	v_mul_f64 v[2:3], v[34:35], v[8:9]
	v_mul_f64 v[4:5], v[32:33], v[8:9]
	v_fma_f64 v[100:101], v[32:33], v[6:7], v[2:3]
	v_fma_f64 v[102:103], v[34:35], v[6:7], -v[4:5]
	global_load_dwordx4 v[32:35], v[0:1], off
	buffer_store_dword v36, off, s[36:39], 0 offset:96 ; 4-byte Folded Spill
	buffer_store_dword v37, off, s[36:39], 0 offset:100 ; 4-byte Folded Spill
	;; [unrolled: 1-line block ×4, first 2 shown]
	v_add_co_u32 v0, vcc_lo, v0, s0
	v_add_co_ci_u32_e32 v1, vcc_lo, s1, v1, vcc_lo
	s_waitcnt vmcnt(0)
	v_mul_f64 v[2:3], v[34:35], v[38:39]
	v_mul_f64 v[4:5], v[32:33], v[38:39]
	v_fma_f64 v[104:105], v[32:33], v[36:37], v[2:3]
	v_fma_f64 v[106:107], v[34:35], v[36:37], -v[4:5]
	global_load_dwordx4 v[213:216], v52, s[8:9]
	global_load_dwordx4 v[32:35], v[0:1], off
	v_add_co_u32 v0, vcc_lo, v0, s0
	v_add_co_ci_u32_e32 v1, vcc_lo, s1, v1, vcc_lo
	s_waitcnt vmcnt(0)
	v_mul_f64 v[2:3], v[34:35], v[215:216]
	v_mul_f64 v[4:5], v[32:33], v[215:216]
	v_fma_f64 v[108:109], v[32:33], v[213:214], v[2:3]
	v_fma_f64 v[110:111], v[34:35], v[213:214], -v[4:5]
	global_load_dwordx4 v[225:228], v51, s[8:9]
	global_load_dwordx4 v[32:35], v[0:1], off
	v_add_co_u32 v0, vcc_lo, v0, s0
	v_add_co_ci_u32_e32 v1, vcc_lo, s1, v1, vcc_lo
	v_cmp_gt_u32_e32 vcc_lo, 14, v204
	s_waitcnt vmcnt(0)
	v_mul_f64 v[4:5], v[32:33], v[227:228]
	v_mul_f64 v[2:3], v[34:35], v[227:228]
	v_fma_f64 v[114:115], v[34:35], v[225:226], -v[4:5]
	global_load_dwordx4 v[116:119], v[0:1], off
	global_load_dwordx4 v[4:7], v49, s[8:9]
	v_fma_f64 v[112:113], v[32:33], v[225:226], v[2:3]
	s_mov_b32 s8, 0xaaaaaaaa
	s_mov_b32 s9, 0xbff2aaaa
	s_waitcnt vmcnt(0)
	buffer_store_dword v4, off, s[36:39], 0 ; 4-byte Folded Spill
	buffer_store_dword v5, off, s[36:39], 0 offset:4 ; 4-byte Folded Spill
	buffer_store_dword v6, off, s[36:39], 0 offset:8 ; 4-byte Folded Spill
	;; [unrolled: 1-line block ×3, first 2 shown]
	v_mul_f64 v[0:1], v[118:119], v[6:7]
	v_mul_f64 v[2:3], v[116:117], v[6:7]
	v_fma_f64 v[116:117], v[116:117], v[4:5], v[0:1]
	v_fma_f64 v[118:119], v[118:119], v[4:5], -v[2:3]
	v_or_b32_e32 v0, v67, v204
	v_lshlrev_b32_e32 v201, 4, v0
	ds_write_b128 v201, v[57:60]
	ds_write_b128 v200, v[68:71] offset:512
	ds_write_b128 v200, v[72:75] offset:1024
	;; [unrolled: 1-line block ×12, first 2 shown]
	s_load_dwordx4 s[0:3], s[2:3], 0x0
	ds_write_b128 v200, v[116:119] offset:3328
	s_waitcnt lgkmcnt(0)
	s_waitcnt_vscnt null, 0x0
	s_barrier
	buffer_gl0_inv
	ds_read_b128 v[56:59], v200 offset:3072
	ds_read_b128 v[68:71], v200 offset:512
	;; [unrolled: 1-line block ×4, first 2 shown]
	v_mad_u64_u32 v[254:255], null, s2, v63, 0
	s_waitcnt lgkmcnt(2)
	v_add_f64 v[0:1], v[68:69], v[56:57]
	v_add_f64 v[2:3], v[70:71], v[58:59]
	v_add_f64 v[4:5], v[68:69], -v[56:57]
	v_add_f64 v[6:7], v[70:71], -v[58:59]
	ds_read_b128 v[56:59], v200 offset:2560
	ds_read_b128 v[68:71], v200 offset:1024
	;; [unrolled: 1-line block ×4, first 2 shown]
	s_waitcnt lgkmcnt(4)
	v_add_f64 v[24:25], v[72:73], v[76:77]
	v_add_f64 v[26:27], v[74:75], v[78:79]
	v_add_f64 v[28:29], v[72:73], -v[76:77]
	v_add_f64 v[30:31], v[74:75], -v[78:79]
	s_waitcnt lgkmcnt(2)
	v_add_f64 v[8:9], v[68:69], v[56:57]
	v_add_f64 v[10:11], v[70:71], v[58:59]
	v_add_f64 v[12:13], v[68:69], -v[56:57]
	v_add_f64 v[14:15], v[70:71], -v[58:59]
	ds_read_b128 v[56:59], v200 offset:2048
	ds_read_b128 v[68:71], v200 offset:1536
	;; [unrolled: 1-line block ×4, first 2 shown]
	s_waitcnt lgkmcnt(4)
	v_add_f64 v[32:33], v[80:81], v[84:85]
	v_add_f64 v[34:35], v[82:83], v[86:87]
	v_add_f64 v[36:37], v[80:81], -v[84:85]
	v_add_f64 v[38:39], v[82:83], -v[86:87]
	s_waitcnt lgkmcnt(2)
	v_add_f64 v[16:17], v[68:69], v[56:57]
	v_add_f64 v[20:21], v[56:57], -v[68:69]
	v_add_f64 v[56:57], v[8:9], v[0:1]
	v_add_f64 v[18:19], v[70:71], v[58:59]
	v_add_f64 v[22:23], v[58:59], -v[70:71]
	s_waitcnt lgkmcnt(0)
	v_add_f64 v[40:41], v[88:89], v[92:93]
	v_add_f64 v[72:73], v[32:33], v[24:25]
	;; [unrolled: 1-line block ×3, first 2 shown]
	v_add_f64 v[44:45], v[92:93], -v[88:89]
	v_add_f64 v[46:47], v[94:95], -v[90:91]
	;; [unrolled: 1-line block ×6, first 2 shown]
	v_add_f64 v[60:61], v[16:17], v[56:57]
	v_add_f64 v[56:57], v[10:11], v[2:3]
	v_add_f64 v[74:75], v[22:23], -v[14:15]
	v_add_f64 v[2:3], v[2:3], -v[18:19]
	v_add_f64 v[92:93], v[40:41], v[72:73]
	v_add_f64 v[72:73], v[34:35], v[26:27]
	v_add_f64 v[10:11], v[18:19], -v[10:11]
	v_mul_f64 v[0:1], v[0:1], s[26:27]
	v_add_f64 v[65:66], v[18:19], v[56:57]
	ds_read_b128 v[56:59], v201
	ds_read_b128 v[68:71], v200 offset:256
	s_waitcnt lgkmcnt(0)
	s_barrier
	buffer_gl0_inv
	v_add_f64 v[94:95], v[42:43], v[72:73]
	v_add_f64 v[72:73], v[22:23], v[14:15]
	v_add_f64 v[14:15], v[14:15], -v[6:7]
	v_mul_f64 v[90:91], v[74:75], s[22:23]
	v_mul_f64 v[2:3], v[2:3], s[26:27]
	v_add_f64 v[56:57], v[56:57], v[60:61]
	v_fma_f64 v[16:17], v[76:77], s[28:29], -v[0:1]
	v_add_f64 v[58:59], v[58:59], v[65:66]
	v_fma_f64 v[0:1], v[8:9], s[12:13], v[0:1]
	v_add_f64 v[68:69], v[68:69], v[92:93]
	v_add_f64 v[70:71], v[70:71], v[94:95]
	;; [unrolled: 1-line block ×3, first 2 shown]
	v_add_f64 v[6:7], v[6:7], -v[22:23]
	v_fma_f64 v[18:19], v[78:79], s[28:29], -v[2:3]
	v_fma_f64 v[2:3], v[10:11], s[12:13], v[2:3]
	v_fma_f64 v[60:61], v[60:61], s[8:9], v[56:57]
	;; [unrolled: 1-line block ×3, first 2 shown]
	ds_write_b128 v203, v[56:59]
	v_add_f64 v[58:59], v[20:21], -v[12:13]
	v_add_f64 v[56:57], v[20:21], v[12:13]
	v_add_f64 v[12:13], v[12:13], -v[4:5]
	v_add_f64 v[16:17], v[16:17], v[60:61]
	v_add_f64 v[0:1], v[0:1], v[60:61]
	;; [unrolled: 1-line block ×4, first 2 shown]
	v_mul_f64 v[88:89], v[58:59], s[22:23]
	v_add_f64 v[84:85], v[56:57], v[4:5]
	v_mul_f64 v[56:57], v[8:9], s[12:13]
	v_add_f64 v[4:5], v[4:5], -v[20:21]
	v_mul_f64 v[58:59], v[10:11], s[12:13]
	v_add_f64 v[10:11], v[44:45], -v[36:37]
	v_add_f64 v[8:9], v[44:45], v[36:37]
	v_fma_f64 v[72:73], v[12:13], s[16:17], -v[88:89]
	v_mul_f64 v[12:13], v[12:13], s[18:19]
	v_fma_f64 v[56:57], v[76:77], s[20:21], -v[56:57]
	v_fma_f64 v[58:59], v[78:79], s[20:21], -v[58:59]
	v_mul_f64 v[10:11], v[10:11], s[22:23]
	v_add_f64 v[8:9], v[8:9], v[28:29]
	v_fma_f64 v[74:75], v[84:85], s[14:15], v[72:73]
	v_fma_f64 v[72:73], v[14:15], s[16:17], -v[90:91]
	v_mul_f64 v[14:15], v[14:15], s[18:19]
	v_fma_f64 v[12:13], v[4:5], s[24:25], v[12:13]
	v_fma_f64 v[4:5], v[4:5], s[30:31], v[88:89]
	v_add_f64 v[80:81], v[56:57], v[60:61]
	v_add_f64 v[82:83], v[58:59], v[65:66]
	v_or_b32_e32 v65, 48, v204
	v_mul_lo_u16 v62, v65, 37
	v_fma_f64 v[72:73], v[86:87], s[14:15], v[72:73]
	v_fma_f64 v[14:15], v[6:7], s[24:25], v[14:15]
	;; [unrolled: 1-line block ×5, first 2 shown]
	v_add_f64 v[58:59], v[74:75], v[82:83]
	v_add_f64 v[74:75], v[82:83], -v[74:75]
	v_add_f64 v[56:57], v[80:81], -v[72:73]
	v_fma_f64 v[14:15], v[86:87], s[14:15], v[14:15]
	v_fma_f64 v[6:7], v[86:87], s[14:15], v[6:7]
	v_add_f64 v[72:73], v[80:81], v[72:73]
	v_add_f64 v[86:87], v[2:3], -v[4:5]
	v_add_f64 v[90:91], v[4:5], v[2:3]
	v_add_f64 v[2:3], v[40:41], -v[32:33]
	v_add_f64 v[78:79], v[18:19], -v[12:13]
	v_add_f64 v[82:83], v[12:13], v[18:19]
	v_add_f64 v[18:19], v[38:39], -v[30:31]
	v_add_f64 v[4:5], v[34:35], -v[26:27]
	;; [unrolled: 1-line block ×3, first 2 shown]
	v_add_f64 v[76:77], v[16:17], v[14:15]
	v_add_f64 v[80:81], v[16:17], -v[14:15]
	v_add_f64 v[16:17], v[46:47], -v[38:39]
	v_add_f64 v[84:85], v[0:1], v[6:7]
	v_add_f64 v[88:89], v[0:1], -v[6:7]
	v_add_f64 v[6:7], v[42:43], -v[34:35]
	;; [unrolled: 1-line block ×3, first 2 shown]
	v_add_f64 v[14:15], v[46:47], v[38:39]
	v_mul_f64 v[20:21], v[2:3], s[12:13]
	v_fma_f64 v[32:33], v[92:93], s[8:9], v[68:69]
	v_fma_f64 v[34:35], v[94:95], s[8:9], v[70:71]
	v_fma_f64 v[36:37], v[12:13], s[16:17], -v[10:11]
	v_mul_f64 v[12:13], v[12:13], s[18:19]
	ds_write_b128 v203, v[84:87] offset:16
	ds_write_b128 v203, v[76:79] offset:32
	;; [unrolled: 1-line block ×6, first 2 shown]
	v_mul_f64 v[16:17], v[16:17], s[22:23]
	v_mul_f64 v[22:23], v[6:7], s[12:13]
	v_mov_b32_e32 v56, 4
	v_add_f64 v[14:15], v[14:15], v[30:31]
	v_fma_f64 v[20:21], v[0:1], s[20:21], -v[20:21]
	s_mov_b32 s23, 0x3fe11646
	v_fma_f64 v[36:37], v[8:9], s[14:15], v[36:37]
	v_fma_f64 v[38:39], v[18:19], s[16:17], -v[16:17]
	v_fma_f64 v[22:23], v[4:5], s[20:21], -v[22:23]
	v_mul_f64 v[18:19], v[18:19], s[18:19]
	v_add_f64 v[20:21], v[20:21], v[32:33]
	v_fma_f64 v[38:39], v[14:15], s[14:15], v[38:39]
	v_add_f64 v[22:23], v[22:23], v[34:35]
	v_add_f64 v[92:93], v[20:21], -v[38:39]
	v_add_f64 v[96:97], v[20:21], v[38:39]
	v_add_f64 v[20:21], v[24:25], -v[40:41]
	;; [unrolled: 2-line block ×3, first 2 shown]
	v_add_f64 v[22:23], v[26:27], -v[42:43]
	v_add_f64 v[26:27], v[30:31], -v[46:47]
	;; [unrolled: 1-line block ×3, first 2 shown]
	v_or_b32_e32 v31, 32, v204
	v_mul_f64 v[20:21], v[20:21], s[26:27]
	v_mul_f64 v[22:23], v[22:23], s[26:27]
	v_fma_f64 v[18:19], v[26:27], s[24:25], v[18:19]
	v_fma_f64 v[12:13], v[24:25], s[24:25], v[12:13]
	v_fma_f64 v[0:1], v[0:1], s[28:29], -v[20:21]
	v_fma_f64 v[2:3], v[2:3], s[12:13], v[20:21]
	v_fma_f64 v[4:5], v[4:5], s[28:29], -v[22:23]
	v_fma_f64 v[18:19], v[14:15], s[14:15], v[18:19]
	v_fma_f64 v[12:13], v[8:9], s[14:15], v[12:13]
	;; [unrolled: 1-line block ×3, first 2 shown]
	v_add_f64 v[0:1], v[0:1], v[32:33]
	v_add_f64 v[2:3], v[2:3], v[32:33]
	v_mul_lo_u16 v32, v31, 37
	v_add_f64 v[4:5], v[4:5], v[34:35]
	v_add_f64 v[6:7], v[6:7], v[34:35]
	v_lshrrev_b16 v33, 8, v32
	v_lshrrev_b16 v35, 8, v62
	;; [unrolled: 1-line block ×3, first 2 shown]
	v_add_f64 v[100:101], v[0:1], v[18:19]
	v_add_f64 v[104:105], v[0:1], -v[18:19]
	v_fma_f64 v[0:1], v[24:25], s[30:31], v[10:11]
	v_add_f64 v[102:103], v[4:5], -v[12:13]
	v_add_f64 v[106:107], v[12:13], v[4:5]
	v_fma_f64 v[4:5], v[26:27], s[30:31], v[16:17]
	v_fma_f64 v[0:1], v[8:9], s[14:15], v[0:1]
	v_mul_lo_u16 v8, v33, 7
	v_fma_f64 v[4:5], v[14:15], s[14:15], v[4:5]
	s_mov_b32 s15, 0xbfdc38aa
	v_sub_nc_u16 v34, v31, v8
	v_mul_lo_u16 v8, v35, 7
	v_sub_nc_u16 v36, v65, v8
	v_lshlrev_b32_sdwa v8, v56, v34 dst_sel:DWORD dst_unused:UNUSED_PAD src0_sel:DWORD src1_sel:BYTE_0
	v_lshlrev_b32_sdwa v9, v56, v36 dst_sel:DWORD dst_unused:UNUSED_PAD src0_sel:DWORD src1_sel:BYTE_0
	v_add_f64 v[110:111], v[6:7], -v[0:1]
	v_add_f64 v[114:115], v[0:1], v[6:7]
	v_mov_b32_e32 v0, v255
	v_add_f64 v[108:109], v[2:3], v[4:5]
	v_add_f64 v[112:113], v[2:3], -v[4:5]
	v_mad_u64_u32 v[0:1], null, s3, v63, v[0:1]
	v_or_b32_e32 v63, 16, v204
	buffer_store_dword v0, off, s[36:39], 0 offset:160 ; 4-byte Folded Spill
	buffer_store_dword v1, off, s[36:39], 0 offset:164 ; 4-byte Folded Spill
	v_mul_u32_u24_e32 v0, 7, v63
	v_mul_lo_u16 v28, v63, 37
	v_add_lshl_u32 v255, v67, v0, 4
	v_mul_lo_u16 v0, v204, 37
	ds_write_b128 v255, v[68:71]
	ds_write_b128 v255, v[108:111] offset:16
	ds_write_b128 v255, v[100:103] offset:32
	;; [unrolled: 1-line block ×6, first 2 shown]
	v_lshrrev_b16 v68, 8, v0
	v_lshrrev_b16 v29, 8, v28
	s_waitcnt lgkmcnt(0)
	s_waitcnt_vscnt null, 0x0
	s_barrier
	buffer_gl0_inv
	v_mul_lo_u16 v0, v68, 7
	v_sub_nc_u16 v69, v204, v0
	v_mul_lo_u16 v0, v29, 7
	v_sub_nc_u16 v30, v63, v0
	v_lshlrev_b32_sdwa v0, v56, v69 dst_sel:DWORD dst_unused:UNUSED_PAD src0_sel:DWORD src1_sel:BYTE_0
	v_lshlrev_b32_sdwa v1, v56, v30 dst_sel:DWORD dst_unused:UNUSED_PAD src0_sel:DWORD src1_sel:BYTE_0
	s_clause 0x1
	global_load_dwordx4 v[96:99], v0, s[10:11]
	global_load_dwordx4 v[92:95], v1, s[10:11]
	ds_read_b128 v[57:60], v200 offset:1792
	ds_read_b128 v[70:73], v200 offset:1536
	s_waitcnt vmcnt(1) lgkmcnt(1)
	v_mul_f64 v[0:1], v[59:60], v[98:99]
	v_mul_f64 v[2:3], v[57:58], v[98:99]
	v_fma_f64 v[0:1], v[57:58], v[96:97], -v[0:1]
	v_fma_f64 v[2:3], v[59:60], v[96:97], v[2:3]
	ds_read_b128 v[57:60], v200 offset:2048
	ds_read_b128 v[74:77], v200 offset:2304
	s_clause 0x1
	global_load_dwordx4 v[144:147], v8, s[10:11]
	global_load_dwordx4 v[136:139], v9, s[10:11]
	s_waitcnt vmcnt(2) lgkmcnt(1)
	v_mul_f64 v[4:5], v[59:60], v[94:95]
	v_mul_f64 v[6:7], v[57:58], v[94:95]
	v_fma_f64 v[4:5], v[57:58], v[92:93], -v[4:5]
	v_fma_f64 v[6:7], v[59:60], v[92:93], v[6:7]
	s_waitcnt vmcnt(1) lgkmcnt(0)
	v_mul_f64 v[8:9], v[76:77], v[146:147]
	v_mul_f64 v[10:11], v[74:75], v[146:147]
	v_fma_f64 v[8:9], v[74:75], v[144:145], -v[8:9]
	v_fma_f64 v[10:11], v[76:77], v[144:145], v[10:11]
	ds_read_b128 v[57:60], v200 offset:2560
	ds_read_b128 v[74:77], v200 offset:2816
	s_waitcnt vmcnt(0) lgkmcnt(1)
	v_mul_f64 v[12:13], v[59:60], v[138:139]
	v_mul_f64 v[14:15], v[57:58], v[138:139]
	v_fma_f64 v[12:13], v[57:58], v[136:137], -v[12:13]
	v_or_b32_e32 v57, 64, v204
	v_fma_f64 v[14:15], v[59:60], v[136:137], v[14:15]
	v_or_b32_e32 v58, 0x50, v204
	v_or_b32_e32 v60, 0x60, v204
	v_mul_lo_u16 v59, 0x93, v57
	v_mul_lo_u16 v61, 0x93, v58
	;; [unrolled: 1-line block ×3, first 2 shown]
	v_lshrrev_b16 v37, 10, v59
	v_lshrrev_b16 v39, 10, v61
	;; [unrolled: 1-line block ×3, first 2 shown]
	v_mul_lo_u16 v16, v37, 7
	v_mul_lo_u16 v24, v41, 7
	v_sub_nc_u16 v38, v57, v16
	v_mul_lo_u16 v16, v39, 7
	v_sub_nc_u16 v42, v60, v24
	v_sub_nc_u16 v40, v58, v16
	v_lshlrev_b32_sdwa v16, v56, v38 dst_sel:DWORD dst_unused:UNUSED_PAD src0_sel:DWORD src1_sel:BYTE_0
	v_lshlrev_b32_sdwa v24, v56, v42 dst_sel:DWORD dst_unused:UNUSED_PAD src0_sel:DWORD src1_sel:BYTE_0
	;; [unrolled: 1-line block ×3, first 2 shown]
	s_clause 0x1
	global_load_dwordx4 v[164:167], v16, s[10:11]
	global_load_dwordx4 v[156:159], v17, s[10:11]
	s_waitcnt vmcnt(1) lgkmcnt(0)
	v_mul_f64 v[16:17], v[76:77], v[166:167]
	v_mul_f64 v[18:19], v[74:75], v[166:167]
	v_fma_f64 v[16:17], v[74:75], v[164:165], -v[16:17]
	v_fma_f64 v[18:19], v[76:77], v[164:165], v[18:19]
	ds_read_b128 v[74:77], v200 offset:3072
	ds_read_b128 v[78:81], v200 offset:3328
	global_load_dwordx4 v[172:175], v24, s[10:11]
	s_waitcnt vmcnt(1) lgkmcnt(1)
	v_mul_f64 v[20:21], v[76:77], v[158:159]
	v_mul_f64 v[22:23], v[74:75], v[158:159]
	v_fma_f64 v[20:21], v[74:75], v[156:157], -v[20:21]
	v_fma_f64 v[22:23], v[76:77], v[156:157], v[22:23]
	s_waitcnt vmcnt(0) lgkmcnt(0)
	v_mul_f64 v[24:25], v[80:81], v[174:175]
	v_mul_f64 v[26:27], v[78:79], v[174:175]
	v_fma_f64 v[24:25], v[78:79], v[172:173], -v[24:25]
	v_fma_f64 v[26:27], v[80:81], v[172:173], v[26:27]
	ds_read_b128 v[74:77], v201
	ds_read_b128 v[78:81], v200 offset:256
	ds_read_b128 v[100:103], v200 offset:512
	;; [unrolled: 1-line block ×5, first 2 shown]
	s_waitcnt lgkmcnt(5)
	v_add_f64 v[82:83], v[74:75], -v[0:1]
	v_add_f64 v[84:85], v[76:77], -v[2:3]
	s_waitcnt lgkmcnt(4)
	v_add_f64 v[86:87], v[78:79], -v[4:5]
	v_add_f64 v[88:89], v[80:81], -v[6:7]
	v_mad_u16 v0, v68, 14, v69
	s_waitcnt lgkmcnt(3)
	v_add_f64 v[108:109], v[100:101], -v[8:9]
	v_add_f64 v[110:111], v[102:103], -v[10:11]
	s_waitcnt lgkmcnt(2)
	v_add_f64 v[112:113], v[104:105], -v[12:13]
	v_add_f64 v[114:115], v[106:107], -v[14:15]
	v_and_b32_e32 v0, 0xff, v0
	s_waitcnt lgkmcnt(1)
	v_add_f64 v[124:125], v[116:117], -v[16:17]
	v_add_f64 v[126:127], v[118:119], -v[18:19]
	s_waitcnt lgkmcnt(0)
	v_add_f64 v[128:129], v[120:121], -v[20:21]
	v_add_f64 v[130:131], v[122:123], -v[22:23]
	v_add_lshl_u32 v0, v67, v0, 4
	v_add_f64 v[132:133], v[70:71], -v[24:25]
	v_add_f64 v[134:135], v[72:73], -v[26:27]
	v_mul_lo_u16 v9, v32, 14
	buffer_store_dword v0, off, s[36:39], 0 offset:200 ; 4-byte Folded Spill
	s_waitcnt_vscnt null, 0x0
	s_barrier
	v_fma_f64 v[74:75], v[74:75], 2.0, -v[82:83]
	v_fma_f64 v[76:77], v[76:77], 2.0, -v[84:85]
	v_fma_f64 v[78:79], v[78:79], 2.0, -v[86:87]
	v_fma_f64 v[80:81], v[80:81], 2.0, -v[88:89]
	buffer_gl0_inv
	ds_write_b128 v0, v[82:85] offset:112
	ds_write_b128 v0, v[74:77]
	v_mad_u16 v0, v29, 14, v30
	v_fma_f64 v[100:101], v[100:101], 2.0, -v[108:109]
	v_fma_f64 v[102:103], v[102:103], 2.0, -v[110:111]
	;; [unrolled: 1-line block ×4, first 2 shown]
	v_and_b32_e32 v0, 0xff, v0
	v_fma_f64 v[116:117], v[116:117], 2.0, -v[124:125]
	v_fma_f64 v[118:119], v[118:119], 2.0, -v[126:127]
	;; [unrolled: 1-line block ×4, first 2 shown]
	v_add_lshl_u32 v0, v67, v0, 4
	v_fma_f64 v[70:71], v[70:71], 2.0, -v[132:133]
	v_fma_f64 v[72:73], v[72:73], 2.0, -v[134:135]
	v_lshrrev_b16 v29, 9, v28
	v_sub_nc_u16 v31, v31, v9
	buffer_store_dword v0, off, s[36:39], 0 offset:196 ; 4-byte Folded Spill
	ds_write_b128 v0, v[78:81]
	ds_write_b128 v0, v[86:89] offset:112
	v_mad_u16 v0, v33, 14, v34
	v_mul_lo_u16 v3, v29, 14
	v_lshrrev_b16 v33, 9, v62
	v_and_b32_e32 v0, 0xff, v0
	v_sub_nc_u16 v30, v63, v3
	v_mul_lo_u16 v9, v33, 14
	v_add_lshl_u32 v0, v67, v0, 4
	v_lshlrev_b32_sdwa v3, v56, v30 dst_sel:DWORD dst_unused:UNUSED_PAD src0_sel:DWORD src1_sel:BYTE_0
	v_sub_nc_u16 v34, v65, v9
	v_lshlrev_b32_sdwa v9, v56, v31 dst_sel:DWORD dst_unused:UNUSED_PAD src0_sel:DWORD src1_sel:BYTE_0
	buffer_store_dword v0, off, s[36:39], 0 offset:192 ; 4-byte Folded Spill
	ds_write_b128 v0, v[100:103]
	ds_write_b128 v0, v[108:111] offset:112
	v_mad_u16 v0, v35, 14, v36
	v_lshlrev_b32_sdwa v10, v56, v34 dst_sel:DWORD dst_unused:UNUSED_PAD src0_sel:DWORD src1_sel:BYTE_0
	v_lshrrev_b16 v35, 11, v59
	v_and_b32_e32 v0, 0xff, v0
	v_mul_lo_u16 v17, v35, 14
	v_add_lshl_u32 v0, v67, v0, 4
	v_sub_nc_u16 v36, v57, v17
	buffer_store_dword v0, off, s[36:39], 0 offset:188 ; 4-byte Folded Spill
	ds_write_b128 v0, v[104:107]
	ds_write_b128 v0, v[112:115] offset:112
	v_mul_lo_u16 v0, v37, 14
	v_lshrrev_b16 v37, 11, v61
	v_add_nc_u32_sdwa v0, v0, v38 dst_sel:DWORD dst_unused:UNUSED_PAD src0_sel:WORD_0 src1_sel:BYTE_0
	v_mul_lo_u16 v17, v37, 14
	v_add_lshl_u32 v0, v67, v0, 4
	v_sub_nc_u16 v38, v58, v17
	v_lshlrev_b32_sdwa v17, v56, v36 dst_sel:DWORD dst_unused:UNUSED_PAD src0_sel:DWORD src1_sel:BYTE_0
	buffer_store_dword v0, off, s[36:39], 0 offset:184 ; 4-byte Folded Spill
	ds_write_b128 v0, v[116:119]
	ds_write_b128 v0, v[124:127] offset:112
	v_mul_lo_u16 v0, v39, 14
	v_lshlrev_b32_sdwa v18, v56, v38 dst_sel:DWORD dst_unused:UNUSED_PAD src0_sel:DWORD src1_sel:BYTE_0
	v_lshrrev_b16 v39, 11, v66
	v_add_nc_u32_sdwa v0, v0, v40 dst_sel:DWORD dst_unused:UNUSED_PAD src0_sel:WORD_0 src1_sel:BYTE_0
	v_mul_lo_u16 v25, v39, 14
	v_add_lshl_u32 v0, v67, v0, 4
	v_sub_nc_u16 v40, v60, v25
	buffer_store_dword v0, off, s[36:39], 0 offset:180 ; 4-byte Folded Spill
	ds_write_b128 v0, v[120:123]
	ds_write_b128 v0, v[128:131] offset:112
	v_mul_lo_u16 v0, v41, 14
	v_lshlrev_b32_sdwa v25, v56, v40 dst_sel:DWORD dst_unused:UNUSED_PAD src0_sel:DWORD src1_sel:BYTE_0
	v_add_nc_u32_sdwa v0, v0, v42 dst_sel:DWORD dst_unused:UNUSED_PAD src0_sel:WORD_0 src1_sel:BYTE_0
	v_add_lshl_u32 v0, v67, v0, 4
	buffer_store_dword v0, off, s[36:39], 0 offset:176 ; 4-byte Folded Spill
	ds_write_b128 v0, v[70:73]
	ds_write_b128 v0, v[132:135] offset:112
	v_add_co_u32 v0, s2, v204, -14
	v_add_co_ci_u32_e64 v1, null, 0, -1, s2
	s_waitcnt lgkmcnt(0)
	s_waitcnt_vscnt null, 0x0
	v_cndmask_b32_e32 v0, v0, v204, vcc_lo
	s_barrier
	v_cndmask_b32_e64 v1, v1, 0, vcc_lo
	buffer_gl0_inv
	v_lshlrev_b64 v[1:2], 4, v[0:1]
	v_add_co_u32 v1, vcc_lo, s10, v1
	v_add_co_ci_u32_e32 v2, vcc_lo, s11, v2, vcc_lo
	s_clause 0x1
	global_load_dwordx4 v[104:107], v[1:2], off offset:112
	global_load_dwordx4 v[100:103], v3, s[10:11] offset:112
	ds_read_b128 v[68:71], v200 offset:1792
	ds_read_b128 v[72:75], v200 offset:1536
	v_cmp_lt_u32_e32 vcc_lo, 13, v204
	s_waitcnt vmcnt(1) lgkmcnt(1)
	v_mul_f64 v[1:2], v[70:71], v[106:107]
	v_mul_f64 v[3:4], v[68:69], v[106:107]
	v_fma_f64 v[1:2], v[68:69], v[104:105], -v[1:2]
	v_fma_f64 v[3:4], v[70:71], v[104:105], v[3:4]
	ds_read_b128 v[68:71], v200 offset:2048
	ds_read_b128 v[76:79], v200 offset:2304
	s_clause 0x1
	global_load_dwordx4 v[148:151], v9, s[10:11] offset:112
	global_load_dwordx4 v[140:143], v10, s[10:11] offset:112
	s_waitcnt vmcnt(2) lgkmcnt(1)
	v_mul_f64 v[5:6], v[70:71], v[102:103]
	v_mul_f64 v[7:8], v[68:69], v[102:103]
	v_fma_f64 v[5:6], v[68:69], v[100:101], -v[5:6]
	v_fma_f64 v[7:8], v[70:71], v[100:101], v[7:8]
	s_waitcnt vmcnt(1) lgkmcnt(0)
	v_mul_f64 v[9:10], v[78:79], v[150:151]
	v_mul_f64 v[11:12], v[76:77], v[150:151]
	v_fma_f64 v[9:10], v[76:77], v[148:149], -v[9:10]
	v_fma_f64 v[11:12], v[78:79], v[148:149], v[11:12]
	ds_read_b128 v[68:71], v200 offset:2560
	ds_read_b128 v[76:79], v200 offset:2816
	s_clause 0x1
	global_load_dwordx4 v[160:163], v17, s[10:11] offset:112
	global_load_dwordx4 v[152:155], v18, s[10:11] offset:112
	s_waitcnt vmcnt(2) lgkmcnt(1)
	v_mul_f64 v[13:14], v[70:71], v[142:143]
	v_mul_f64 v[15:16], v[68:69], v[142:143]
	v_fma_f64 v[13:14], v[68:69], v[140:141], -v[13:14]
	v_fma_f64 v[15:16], v[70:71], v[140:141], v[15:16]
	s_waitcnt vmcnt(1) lgkmcnt(0)
	v_mul_f64 v[17:18], v[78:79], v[162:163]
	v_mul_f64 v[19:20], v[76:77], v[162:163]
	v_fma_f64 v[17:18], v[76:77], v[160:161], -v[17:18]
	v_fma_f64 v[19:20], v[78:79], v[160:161], v[19:20]
	ds_read_b128 v[68:71], v200 offset:3072
	ds_read_b128 v[76:79], v200 offset:3328
	global_load_dwordx4 v[168:171], v25, s[10:11] offset:112
	s_waitcnt vmcnt(1) lgkmcnt(1)
	v_mul_f64 v[21:22], v[70:71], v[154:155]
	v_mul_f64 v[23:24], v[68:69], v[154:155]
	v_fma_f64 v[21:22], v[68:69], v[152:153], -v[21:22]
	v_fma_f64 v[23:24], v[70:71], v[152:153], v[23:24]
	s_waitcnt vmcnt(0) lgkmcnt(0)
	v_mul_f64 v[25:26], v[78:79], v[170:171]
	v_mul_f64 v[27:28], v[76:77], v[170:171]
	v_fma_f64 v[25:26], v[76:77], v[168:169], -v[25:26]
	v_fma_f64 v[27:28], v[78:79], v[168:169], v[27:28]
	ds_read_b128 v[68:71], v201
	ds_read_b128 v[76:79], v200 offset:256
	ds_read_b128 v[88:91], v200 offset:512
	;; [unrolled: 1-line block ×5, first 2 shown]
	s_waitcnt lgkmcnt(5)
	v_add_f64 v[80:81], v[68:69], -v[1:2]
	v_add_f64 v[82:83], v[70:71], -v[3:4]
	s_waitcnt lgkmcnt(4)
	v_add_f64 v[84:85], v[76:77], -v[5:6]
	v_add_f64 v[86:87], v[78:79], -v[7:8]
	v_cndmask_b32_e64 v1, 0, 28, vcc_lo
	s_waitcnt lgkmcnt(3)
	v_add_f64 v[112:113], v[88:89], -v[9:10]
	v_add_f64 v[114:115], v[90:91], -v[11:12]
	s_waitcnt lgkmcnt(2)
	v_add_f64 v[116:117], v[108:109], -v[13:14]
	v_add_f64 v[118:119], v[110:111], -v[15:16]
	v_add_nc_u32_e32 v0, v0, v1
	s_waitcnt lgkmcnt(1)
	v_add_f64 v[128:129], v[120:121], -v[17:18]
	v_add_f64 v[130:131], v[122:123], -v[19:20]
	s_waitcnt lgkmcnt(0)
	v_add_f64 v[132:133], v[124:125], -v[21:22]
	v_add_f64 v[134:135], v[126:127], -v[23:24]
	v_add_lshl_u32 v0, v67, v0, 4
	v_add_f64 v[176:177], v[72:73], -v[25:26]
	v_add_f64 v[178:179], v[74:75], -v[27:28]
	v_add_co_u32 v4, s2, v204, -12
	buffer_store_dword v0, off, s[36:39], 0 offset:204 ; 4-byte Folded Spill
	s_waitcnt_vscnt null, 0x0
	s_barrier
	v_fma_f64 v[68:69], v[68:69], 2.0, -v[80:81]
	v_fma_f64 v[70:71], v[70:71], 2.0, -v[82:83]
	v_fma_f64 v[76:77], v[76:77], 2.0, -v[84:85]
	v_fma_f64 v[78:79], v[78:79], 2.0, -v[86:87]
	buffer_gl0_inv
	ds_write_b128 v0, v[80:83] offset:224
	ds_write_b128 v0, v[68:71]
	v_mad_u16 v0, v29, 28, v30
	v_fma_f64 v[88:89], v[88:89], 2.0, -v[112:113]
	v_fma_f64 v[90:91], v[90:91], 2.0, -v[114:115]
	;; [unrolled: 1-line block ×4, first 2 shown]
	v_and_b32_e32 v0, 0xff, v0
	v_fma_f64 v[120:121], v[120:121], 2.0, -v[128:129]
	v_fma_f64 v[122:123], v[122:123], 2.0, -v[130:131]
	;; [unrolled: 1-line block ×4, first 2 shown]
	v_add_lshl_u32 v0, v67, v0, 4
	v_fma_f64 v[72:73], v[72:73], 2.0, -v[176:177]
	v_fma_f64 v[74:75], v[74:75], 2.0, -v[178:179]
	v_cmp_gt_u64_e32 vcc_lo, 28, v[63:64]
	v_add_co_ci_u32_e64 v5, null, 0, -1, s2
	buffer_store_dword v0, off, s[36:39], 0 offset:212 ; 4-byte Folded Spill
	ds_write_b128 v0, v[76:79]
	ds_write_b128 v0, v[84:87] offset:224
	v_mad_u16 v0, v32, 28, v31
	v_lshrrev_b16 v29, 10, v62
	v_cndmask_b32_e32 v4, v4, v63, vcc_lo
	v_cndmask_b32_e64 v5, v5, 0, vcc_lo
	v_lshrrev_b16 v17, 12, v59
	v_and_b32_e32 v0, 0xff, v0
	v_mul_lo_u16 v7, v29, 28
	v_lshrrev_b16 v25, 12, v66
	v_lshlrev_b64 v[5:6], 4, v[4:5]
	v_mul_lo_u16 v17, v17, 28
	v_add_lshl_u32 v0, v67, v0, 4
	v_sub_nc_u16 v30, v65, v7
	v_mul_lo_u16 v25, v25, 28
	v_lshrrev_b16 v31, 12, v61
	v_add_co_u32 v5, vcc_lo, s10, v5
	buffer_store_dword v0, off, s[36:39], 0 offset:208 ; 4-byte Folded Spill
	ds_write_b128 v0, v[88:91]
	ds_write_b128 v0, v[112:115] offset:224
	v_mad_u16 v0, v33, 28, v34
	v_add_co_ci_u32_e32 v6, vcc_lo, s11, v6, vcc_lo
	v_lshlrev_b32_sdwa v7, v56, v30 dst_sel:DWORD dst_unused:UNUSED_PAD src0_sel:DWORD src1_sel:BYTE_0
	v_sub_nc_u16 v17, v57, v17
	v_and_b32_e32 v0, 0xff, v0
	v_sub_nc_u16 v25, v60, v25
	v_mul_lo_u16 v18, v31, 28
	v_cmp_lt_u64_e32 vcc_lo, 27, v[63:64]
	v_and_b32_e32 v33, 0xff, v17
	v_add_lshl_u32 v0, v67, v0, 4
	v_and_b32_e32 v34, 0xff, v25
	v_sub_nc_u16 v32, v58, v18
	v_mov_b32_e32 v66, v64
	v_lshlrev_b32_e32 v18, 4, v33
	buffer_store_dword v0, off, s[36:39], 0 offset:228 ; 4-byte Folded Spill
	ds_write_b128 v0, v[108:111]
	ds_write_b128 v0, v[116:119] offset:224
	v_mul_lo_u16 v0, v35, 28
	v_lshlrev_b32_e32 v25, 4, v34
	v_lshlrev_b32_sdwa v17, v56, v32 dst_sel:DWORD dst_unused:UNUSED_PAD src0_sel:DWORD src1_sel:BYTE_0
	v_add_lshl_u32 v62, v67, v33, 4
	v_add_nc_u32_sdwa v0, v0, v36 dst_sel:DWORD dst_unused:UNUSED_PAD src0_sel:WORD_0 src1_sel:BYTE_0
	v_add_lshl_u32 v0, v67, v0, 4
	buffer_store_dword v0, off, s[36:39], 0 offset:224 ; 4-byte Folded Spill
	ds_write_b128 v0, v[120:123]
	ds_write_b128 v0, v[128:131] offset:224
	v_mul_lo_u16 v0, v37, 28
	v_add_nc_u32_sdwa v0, v0, v38 dst_sel:DWORD dst_unused:UNUSED_PAD src0_sel:WORD_0 src1_sel:BYTE_0
	v_add_lshl_u32 v0, v67, v0, 4
	buffer_store_dword v0, off, s[36:39], 0 offset:220 ; 4-byte Folded Spill
	ds_write_b128 v0, v[124:127]
	ds_write_b128 v0, v[132:135] offset:224
	v_mul_lo_u16 v0, v39, 28
	v_add_nc_u32_sdwa v0, v0, v40 dst_sel:DWORD dst_unused:UNUSED_PAD src0_sel:WORD_0 src1_sel:BYTE_0
	v_add_lshl_u32 v0, v67, v0, 4
	buffer_store_dword v0, off, s[36:39], 0 offset:216 ; 4-byte Folded Spill
	ds_write_b128 v0, v[72:75]
	ds_write_b128 v0, v[176:179] offset:224
	s_waitcnt lgkmcnt(0)
	s_waitcnt_vscnt null, 0x0
	s_barrier
	buffer_gl0_inv
	s_clause 0x1
	global_load_dwordx4 v[108:111], v202, s[10:11] offset:336
	global_load_dwordx4 v[132:135], v202, s[10:11] offset:400
	ds_read_b128 v[68:71], v200 offset:1792
	ds_read_b128 v[72:75], v200 offset:1536
	s_clause 0x1
	global_load_dwordx4 v[180:183], v[5:6], off offset:336
	global_load_dwordx4 v[176:179], v7, s[10:11] offset:336
	s_waitcnt vmcnt(3) lgkmcnt(1)
	v_mul_f64 v[0:1], v[70:71], v[110:111]
	v_mul_f64 v[2:3], v[68:69], v[110:111]
	v_fma_f64 v[0:1], v[68:69], v[108:109], -v[0:1]
	v_fma_f64 v[2:3], v[70:71], v[108:109], v[2:3]
	ds_read_b128 v[68:71], v200 offset:2048
	ds_read_b128 v[76:79], v200 offset:2304
	s_waitcnt vmcnt(1) lgkmcnt(1)
	v_mul_f64 v[5:6], v[70:71], v[182:183]
	v_mul_f64 v[7:8], v[68:69], v[182:183]
	s_waitcnt lgkmcnt(0)
	v_mul_f64 v[9:10], v[78:79], v[134:135]
	v_mul_f64 v[11:12], v[76:77], v[134:135]
	v_fma_f64 v[5:6], v[68:69], v[180:181], -v[5:6]
	v_fma_f64 v[7:8], v[70:71], v[180:181], v[7:8]
	v_fma_f64 v[9:10], v[76:77], v[132:133], -v[9:10]
	v_fma_f64 v[11:12], v[78:79], v[132:133], v[11:12]
	ds_read_b128 v[68:71], v200 offset:2560
	ds_read_b128 v[76:79], v200 offset:2816
	s_clause 0x1
	global_load_dwordx4 v[188:191], v18, s[10:11] offset:336
	global_load_dwordx4 v[184:187], v17, s[10:11] offset:336
	s_waitcnt vmcnt(2) lgkmcnt(1)
	v_mul_f64 v[13:14], v[70:71], v[178:179]
	v_mul_f64 v[15:16], v[68:69], v[178:179]
	v_fma_f64 v[13:14], v[68:69], v[176:177], -v[13:14]
	v_fma_f64 v[15:16], v[70:71], v[176:177], v[15:16]
	ds_read_b128 v[56:59], v200 offset:3072
	ds_read_b128 v[68:71], v200 offset:3328
	global_load_dwordx4 v[192:195], v25, s[10:11] offset:336
	s_waitcnt vmcnt(2) lgkmcnt(2)
	v_mul_f64 v[17:18], v[78:79], v[190:191]
	s_waitcnt vmcnt(1) lgkmcnt(1)
	v_mul_f64 v[21:22], v[58:59], v[186:187]
	v_mul_f64 v[23:24], v[56:57], v[186:187]
	;; [unrolled: 1-line block ×3, first 2 shown]
	v_fma_f64 v[17:18], v[76:77], v[188:189], -v[17:18]
	v_fma_f64 v[21:22], v[56:57], v[184:185], -v[21:22]
	v_fma_f64 v[23:24], v[58:59], v[184:185], v[23:24]
	v_fma_f64 v[19:20], v[78:79], v[188:189], v[19:20]
	s_waitcnt vmcnt(0) lgkmcnt(0)
	v_mul_f64 v[25:26], v[70:71], v[194:195]
	v_mul_f64 v[27:28], v[68:69], v[194:195]
	v_fma_f64 v[25:26], v[68:69], v[192:193], -v[25:26]
	v_fma_f64 v[27:28], v[70:71], v[192:193], v[27:28]
	ds_read_b128 v[56:59], v201
	ds_read_b128 v[68:71], v200 offset:256
	ds_read_b128 v[84:87], v200 offset:512
	;; [unrolled: 1-line block ×5, first 2 shown]
	s_waitcnt lgkmcnt(0)
	s_barrier
	buffer_gl0_inv
	v_add_f64 v[76:77], v[56:57], -v[0:1]
	v_add_f64 v[78:79], v[58:59], -v[2:3]
	;; [unrolled: 1-line block ×14, first 2 shown]
	v_cndmask_b32_e64 v0, 0, 56, vcc_lo
	v_add_co_u32 v12, s2, v204, -8
	v_cmp_gt_u64_e32 vcc_lo, 56, v[65:66]
	v_add_co_ci_u32_e64 v13, null, 0, -1, s2
	v_add_nc_u32_e32 v0, v0, v4
	v_fma_f64 v[56:57], v[56:57], 2.0, -v[76:77]
	v_fma_f64 v[58:59], v[58:59], 2.0, -v[78:79]
	;; [unrolled: 1-line block ×3, first 2 shown]
	v_add_lshl_u32 v229, v67, v0, 4
	v_mad_u16 v0, v29, 56, v30
	v_fma_f64 v[70:71], v[70:71], 2.0, -v[82:83]
	v_fma_f64 v[88:89], v[88:89], 2.0, -v[116:117]
	;; [unrolled: 1-line block ×11, first 2 shown]
	v_and_b32_e32 v0, 0xff, v0
	ds_write_b128 v201, v[76:79] offset:448
	ds_write_b128 v201, v[56:59]
	v_add_lshl_u32 v63, v67, v0, 4
	v_mul_lo_u16 v0, v31, 56
	v_add_lshl_u32 v58, v67, v34, 4
	ds_write_b128 v229, v[68:71]
	ds_write_b128 v229, v[80:83] offset:448
	ds_write_b128 v201, v[84:87] offset:960
	;; [unrolled: 1-line block ×3, first 2 shown]
	v_add_nc_u32_sdwa v0, v0, v32 dst_sel:DWORD dst_unused:UNUSED_PAD src0_sel:WORD_0 src1_sel:BYTE_0
	ds_write_b128 v63, v[88:91]
	ds_write_b128 v63, v[116:119] offset:448
	ds_write_b128 v62, v[120:123] offset:1792
	ds_write_b128 v62, v[128:131] offset:2240
	v_cndmask_b32_e32 v12, v12, v65, vcc_lo
	v_cndmask_b32_e64 v13, v13, 0, vcc_lo
	v_add_lshl_u32 v59, v67, v0, 4
	ds_write_b128 v59, v[124:127]
	ds_write_b128 v59, v[230:233] offset:448
	ds_write_b128 v58, v[72:75] offset:2688
	;; [unrolled: 1-line block ×3, first 2 shown]
	s_waitcnt lgkmcnt(0)
	s_barrier
	buffer_gl0_inv
	s_clause 0x1
	global_load_dwordx4 v[196:199], v202, s[10:11] offset:784
	global_load_dwordx4 v[209:212], v202, s[10:11] offset:912
	ds_read_b128 v[68:71], v200 offset:1792
	ds_read_b128 v[112:115], v200 offset:1536
	global_load_dwordx4 v[80:83], v202, s[10:11] offset:1040
	v_lshlrev_b64 v[13:14], 4, v[12:13]
	v_add_co_u32 v13, vcc_lo, s10, v13
	v_add_co_ci_u32_e32 v14, vcc_lo, s11, v14, vcc_lo
	v_cmp_lt_u64_e32 vcc_lo, 55, v[65:66]
	s_waitcnt vmcnt(2) lgkmcnt(1)
	v_mul_f64 v[0:1], v[70:71], v[198:199]
	v_mul_f64 v[2:3], v[68:69], v[198:199]
	v_fma_f64 v[0:1], v[68:69], v[196:197], -v[0:1]
	v_fma_f64 v[2:3], v[70:71], v[196:197], v[2:3]
	ds_read_b128 v[68:71], v200 offset:2048
	ds_read_b128 v[88:91], v200 offset:2304
	s_clause 0x2
	global_load_dwordx4 v[72:75], v202, s[10:11] offset:1168
	global_load_dwordx4 v[84:87], v202, s[10:11] offset:1296
	;; [unrolled: 1-line block ×3, first 2 shown]
	s_waitcnt vmcnt(3) lgkmcnt(1)
	v_mul_f64 v[4:5], v[70:71], v[82:83]
	v_mul_f64 v[6:7], v[68:69], v[82:83]
	v_fma_f64 v[4:5], v[68:69], v[80:81], -v[4:5]
	v_fma_f64 v[6:7], v[70:71], v[80:81], v[6:7]
	s_waitcnt vmcnt(1) lgkmcnt(0)
	v_mul_f64 v[8:9], v[90:91], v[86:87]
	v_mul_f64 v[10:11], v[88:89], v[86:87]
	v_fma_f64 v[8:9], v[88:89], v[84:85], -v[8:9]
	v_fma_f64 v[10:11], v[90:91], v[84:85], v[10:11]
	global_load_dwordx4 v[88:91], v[13:14], off offset:784
	ds_read_b128 v[68:71], v200 offset:2560
	ds_read_b128 v[116:119], v200 offset:2816
	s_waitcnt lgkmcnt(0)
	v_mul_f64 v[17:18], v[118:119], v[211:212]
	v_mul_f64 v[19:20], v[116:117], v[211:212]
	v_fma_f64 v[17:18], v[116:117], v[209:210], -v[17:18]
	v_fma_f64 v[19:20], v[118:119], v[209:210], v[19:20]
	s_waitcnt vmcnt(0)
	v_mul_f64 v[13:14], v[70:71], v[90:91]
	v_mul_f64 v[15:16], v[68:69], v[90:91]
	v_fma_f64 v[13:14], v[68:69], v[88:89], -v[13:14]
	v_fma_f64 v[15:16], v[70:71], v[88:89], v[15:16]
	ds_read_b128 v[68:71], v200 offset:3072
	ds_read_b128 v[116:119], v200 offset:3328
	s_waitcnt lgkmcnt(1)
	v_mul_f64 v[21:22], v[70:71], v[74:75]
	v_mul_f64 v[23:24], v[68:69], v[74:75]
	s_waitcnt lgkmcnt(0)
	v_mul_f64 v[25:26], v[118:119], v[78:79]
	v_mul_f64 v[27:28], v[116:117], v[78:79]
	v_fma_f64 v[21:22], v[68:69], v[72:73], -v[21:22]
	v_fma_f64 v[23:24], v[70:71], v[72:73], v[23:24]
	v_fma_f64 v[25:26], v[116:117], v[76:77], -v[25:26]
	v_fma_f64 v[27:28], v[118:119], v[76:77], v[27:28]
	ds_read_b128 v[68:71], v201
	ds_read_b128 v[116:119], v200 offset:256
	ds_read_b128 v[128:131], v200 offset:512
	;; [unrolled: 1-line block ×5, first 2 shown]
	s_waitcnt lgkmcnt(0)
	s_barrier
	buffer_gl0_inv
	v_add_f64 v[120:121], v[68:69], -v[0:1]
	v_add_f64 v[122:123], v[70:71], -v[2:3]
	;; [unrolled: 1-line block ×14, first 2 shown]
	v_cndmask_b32_e64 v4, 0, 0x70, vcc_lo
	v_add_nc_u32_e32 v4, v4, v12
	v_fma_f64 v[68:69], v[68:69], 2.0, -v[120:121]
	v_fma_f64 v[70:71], v[70:71], 2.0, -v[122:123]
	;; [unrolled: 1-line block ×14, first 2 shown]
	ds_write_b128 v201, v[120:123] offset:896
	ds_write_b128 v201, v[68:71]
	ds_write_b128 v200, v[116:119] offset:256
	ds_write_b128 v201, v[124:127] offset:1152
	;; [unrolled: 1-line block ×4, first 2 shown]
	v_add_lshl_u32 v234, v67, v4, 4
	ds_write_b128 v234, v[230:233]
	ds_write_b128 v234, v[238:241] offset:896
	ds_write_b128 v201, v[242:245] offset:1920
	;; [unrolled: 1-line block ×7, first 2 shown]
	s_waitcnt lgkmcnt(0)
	s_barrier
	buffer_gl0_inv
	s_clause 0x1
	global_load_dwordx4 v[64:67], v202, s[10:11] offset:1680
	global_load_dwordx4 v[68:71], v202, s[10:11] offset:1936
	ds_read_b128 v[0:3], v200 offset:1792
	ds_read_b128 v[205:208], v200 offset:1536
	s_waitcnt vmcnt(1) lgkmcnt(1)
	v_mul_f64 v[4:5], v[2:3], v[66:67]
	v_fma_f64 v[4:5], v[0:1], v[64:65], -v[4:5]
	v_mul_f64 v[0:1], v[0:1], v[66:67]
	v_fma_f64 v[6:7], v[2:3], v[64:65], v[0:1]
	ds_read_b128 v[0:3], v200 offset:2048
	ds_read_b128 v[116:119], v200 offset:2304
	s_waitcnt vmcnt(0) lgkmcnt(1)
	v_mul_f64 v[8:9], v[2:3], v[70:71]
	v_fma_f64 v[8:9], v[0:1], v[68:69], -v[8:9]
	v_mul_f64 v[0:1], v[0:1], v[70:71]
	v_fma_f64 v[10:11], v[2:3], v[68:69], v[0:1]
	v_add_co_u32 v0, s2, s10, v202
	v_add_co_ci_u32_e64 v1, null, s11, 0, s2
	s_load_dwordx2 s[2:3], s[4:5], 0x38
	v_add_co_u32 v12, vcc_lo, 0x800, v0
	v_add_co_ci_u32_e32 v13, vcc_lo, 0, v1, vcc_lo
	s_clause 0x1
	global_load_dwordx4 v[120:123], v[12:13], off offset:144
	global_load_dwordx4 v[112:115], v[12:13], off offset:400
	s_mov_b32 s4, 0x92492492
	s_mov_b32 s5, 0x3f724924
	s_waitcnt vmcnt(1) lgkmcnt(0)
	v_mul_f64 v[0:1], v[118:119], v[122:123]
	v_fma_f64 v[14:15], v[116:117], v[120:121], -v[0:1]
	v_mul_f64 v[0:1], v[116:117], v[122:123]
	v_fma_f64 v[16:17], v[118:119], v[120:121], v[0:1]
	ds_read_b128 v[0:3], v200 offset:2560
	ds_read_b128 v[128:131], v200 offset:2816
	s_clause 0x1
	global_load_dwordx4 v[124:127], v[12:13], off offset:656
	global_load_dwordx4 v[116:119], v[12:13], off offset:912
	s_waitcnt vmcnt(2) lgkmcnt(1)
	v_mul_f64 v[18:19], v[2:3], v[114:115]
	v_fma_f64 v[18:19], v[0:1], v[112:113], -v[18:19]
	v_mul_f64 v[0:1], v[0:1], v[114:115]
	v_fma_f64 v[24:25], v[2:3], v[112:113], v[0:1]
	s_waitcnt vmcnt(1) lgkmcnt(0)
	v_mul_f64 v[0:1], v[130:131], v[126:127]
	v_fma_f64 v[26:27], v[128:129], v[124:125], -v[0:1]
	v_mul_f64 v[0:1], v[128:129], v[126:127]
	v_fma_f64 v[28:29], v[130:131], v[124:125], v[0:1]
	ds_read_b128 v[0:3], v200 offset:3072
	ds_read_b128 v[230:233], v200 offset:3328
	global_load_dwordx4 v[128:131], v[12:13], off offset:1168
	s_waitcnt vmcnt(1) lgkmcnt(1)
	v_mul_f64 v[20:21], v[2:3], v[118:119]
	v_fma_f64 v[30:31], v[0:1], v[116:117], -v[20:21]
	v_mul_f64 v[0:1], v[0:1], v[118:119]
	v_fma_f64 v[32:33], v[2:3], v[116:117], v[0:1]
	s_waitcnt vmcnt(0) lgkmcnt(0)
	v_mul_f64 v[0:1], v[232:233], v[130:131]
	v_fma_f64 v[34:35], v[230:231], v[128:129], -v[0:1]
	v_mul_f64 v[0:1], v[230:231], v[130:131]
	v_fma_f64 v[36:37], v[232:233], v[128:129], v[0:1]
	ds_read_b128 v[0:3], v201
	ds_read_b128 v[230:233], v200 offset:256
	ds_read_b128 v[243:246], v200 offset:512
	;; [unrolled: 1-line block ×3, first 2 shown]
	s_waitcnt lgkmcnt(3)
	v_add_f64 v[235:236], v[0:1], -v[4:5]
	v_add_f64 v[237:238], v[2:3], -v[6:7]
	s_waitcnt lgkmcnt(2)
	v_add_f64 v[241:242], v[232:233], -v[10:11]
	s_waitcnt lgkmcnt(1)
	;; [unrolled: 2-line block ×3, first 2 shown]
	v_add_f64 v[12:13], v[247:248], -v[18:19]
	v_add_f64 v[239:240], v[230:231], -v[8:9]
	;; [unrolled: 1-line block ×4, first 2 shown]
	v_fma_f64 v[20:21], v[0:1], 2.0, -v[235:236]
	v_fma_f64 v[22:23], v[2:3], 2.0, -v[237:238]
	ds_read_b128 v[0:3], v200 offset:1024
	ds_read_b128 v[4:7], v200 offset:1280
	v_fma_f64 v[232:233], v[232:233], 2.0, -v[241:242]
	v_fma_f64 v[245:246], v[245:246], 2.0, -v[10:11]
	;; [unrolled: 1-line block ×6, first 2 shown]
	s_waitcnt lgkmcnt(1)
	v_add_f64 v[16:17], v[0:1], -v[26:27]
	v_add_f64 v[18:19], v[2:3], -v[28:29]
	v_fma_f64 v[24:25], v[0:1], 2.0, -v[16:17]
	v_fma_f64 v[26:27], v[2:3], 2.0, -v[18:19]
	s_waitcnt lgkmcnt(0)
	v_add_f64 v[0:1], v[4:5], -v[30:31]
	v_add_f64 v[2:3], v[6:7], -v[32:33]
	v_fma_f64 v[28:29], v[4:5], 2.0, -v[0:1]
	v_fma_f64 v[30:31], v[6:7], 2.0, -v[2:3]
	v_add_f64 v[4:5], v[205:206], -v[34:35]
	v_add_f64 v[6:7], v[207:208], -v[36:37]
	v_fma_f64 v[205:206], v[205:206], 2.0, -v[4:5]
	v_fma_f64 v[207:208], v[207:208], 2.0, -v[6:7]
	ds_write_b128 v201, v[20:23]
	ds_write_b128 v200, v[235:238] offset:1792
	ds_write_b128 v200, v[230:233] offset:256
	;; [unrolled: 1-line block ×13, first 2 shown]
	s_waitcnt lgkmcnt(0)
	s_barrier
	buffer_gl0_inv
	s_clause 0x1
	global_load_dwordx4 v[0:3], v202, s[6:7]
	global_load_dwordx4 v[40:43], v202, s[6:7] offset:256
	ds_read_b128 v[4:7], v201
	s_clause 0x2
	global_load_dwordx4 v[20:23], v202, s[6:7] offset:1024
	global_load_dwordx4 v[28:31], v202, s[6:7] offset:1280
	;; [unrolled: 1-line block ×3, first 2 shown]
	s_waitcnt vmcnt(4) lgkmcnt(0)
	v_mul_f64 v[8:9], v[6:7], v[2:3]
	v_mul_f64 v[10:11], v[4:5], v[2:3]
	v_fma_f64 v[2:3], v[4:5], v[0:1], -v[8:9]
	v_fma_f64 v[4:5], v[6:7], v[0:1], v[10:11]
	ds_write_b128 v201, v[2:5]
	global_load_dwordx4 v[0:3], v202, s[6:7] offset:512
	ds_read_b128 v[4:7], v200 offset:512
	ds_read_b128 v[32:35], v200 offset:256
	;; [unrolled: 1-line block ×4, first 2 shown]
	s_clause 0x1
	global_load_dwordx4 v[230:233], v202, s[6:7] offset:1536
	global_load_dwordx4 v[235:238], v202, s[6:7] offset:1792
	ds_read_b128 v[239:242], v200 offset:1536
	ds_read_b128 v[243:246], v200 offset:1280
	s_waitcnt vmcnt(2) lgkmcnt(5)
	v_mul_f64 v[8:9], v[6:7], v[2:3]
	v_mul_f64 v[2:3], v[4:5], v[2:3]
	v_fma_f64 v[44:45], v[4:5], v[0:1], -v[8:9]
	v_fma_f64 v[46:47], v[6:7], v[0:1], v[2:3]
	s_waitcnt lgkmcnt(3)
	v_mul_f64 v[0:1], v[26:27], v[22:23]
	v_mul_f64 v[2:3], v[24:25], v[22:23]
	v_fma_f64 v[24:25], v[24:25], v[20:21], -v[0:1]
	s_waitcnt vmcnt(1) lgkmcnt(1)
	v_mul_f64 v[0:1], v[241:242], v[232:233]
	v_fma_f64 v[26:27], v[26:27], v[20:21], v[2:3]
	v_mul_f64 v[2:3], v[239:240], v[232:233]
	v_fma_f64 v[239:240], v[239:240], v[230:231], -v[0:1]
	buffer_load_dword v0, off, s[36:39], 0 offset:168 ; 4-byte Folded Reload
	v_fma_f64 v[241:242], v[241:242], v[230:231], v[2:3]
	s_waitcnt vmcnt(0)
	global_load_dwordx4 v[230:233], v0, s[6:7]
	buffer_load_dword v0, off, s[36:39], 0 offset:172 ; 4-byte Folded Reload
	s_waitcnt vmcnt(0)
	global_load_dwordx4 v[247:250], v0, s[6:7]
	ds_read_b128 v[0:3], v200 offset:2048
	ds_read_b128 v[12:15], v200 offset:1792
	s_waitcnt lgkmcnt(1)
	v_mul_f64 v[4:5], v[2:3], v[232:233]
	v_mul_f64 v[6:7], v[0:1], v[232:233]
	v_fma_f64 v[20:21], v[0:1], v[230:231], -v[4:5]
	v_fma_f64 v[22:23], v[2:3], v[230:231], v[6:7]
	ds_read_b128 v[230:233], v200 offset:2560
	ds_read_b128 v[8:11], v200 offset:2304
	s_waitcnt vmcnt(0) lgkmcnt(1)
	v_mul_f64 v[0:1], v[232:233], v[249:250]
	v_mul_f64 v[2:3], v[230:231], v[249:250]
	v_fma_f64 v[230:231], v[230:231], v[247:248], -v[0:1]
	v_fma_f64 v[232:233], v[232:233], v[247:248], v[2:3]
	s_clause 0x1
	global_load_dwordx4 v[247:250], v50, s[6:7]
	global_load_dwordx4 v[4:7], v52, s[6:7]
	ds_read_b128 v[0:3], v200 offset:3072
	ds_read_b128 v[16:19], v200 offset:2816
	s_waitcnt vmcnt(1) lgkmcnt(1)
	v_mul_f64 v[251:252], v[2:3], v[249:250]
	v_mul_f64 v[249:250], v[0:1], v[249:250]
	v_fma_f64 v[0:1], v[0:1], v[247:248], -v[251:252]
	v_fma_f64 v[2:3], v[2:3], v[247:248], v[249:250]
	v_mul_f64 v[247:248], v[34:35], v[42:43]
	v_mul_f64 v[42:43], v[32:33], v[42:43]
	v_fma_f64 v[32:33], v[32:33], v[40:41], -v[247:248]
	v_fma_f64 v[34:35], v[34:35], v[40:41], v[42:43]
	;; [unrolled: 4-line block ×5, first 2 shown]
	s_waitcnt vmcnt(0)
	v_mul_f64 v[28:29], v[10:11], v[6:7]
	v_mul_f64 v[30:31], v[8:9], v[6:7]
	v_fma_f64 v[6:7], v[8:9], v[4:5], -v[28:29]
	v_fma_f64 v[8:9], v[10:11], v[4:5], v[30:31]
	s_clause 0x1
	global_load_dwordx4 v[28:31], v51, s[6:7]
	global_load_dwordx4 v[235:238], v49, s[6:7]
	s_waitcnt vmcnt(1) lgkmcnt(0)
	v_mul_f64 v[4:5], v[18:19], v[30:31]
	v_mul_f64 v[10:11], v[16:17], v[30:31]
	v_fma_f64 v[16:17], v[16:17], v[28:29], -v[4:5]
	v_fma_f64 v[18:19], v[18:19], v[28:29], v[10:11]
	ds_read_b128 v[28:31], v200 offset:3328
	s_waitcnt vmcnt(0) lgkmcnt(0)
	v_mul_f64 v[4:5], v[30:31], v[237:238]
	v_mul_f64 v[10:11], v[28:29], v[237:238]
	v_fma_f64 v[28:29], v[28:29], v[235:236], -v[4:5]
	v_fma_f64 v[30:31], v[30:31], v[235:236], v[10:11]
	ds_write_b128 v200, v[44:47] offset:512
	ds_write_b128 v200, v[24:27] offset:1024
	;; [unrolled: 1-line block ×13, first 2 shown]
	s_waitcnt lgkmcnt(0)
	s_barrier
	buffer_gl0_inv
	ds_read_b128 v[0:3], v200 offset:3072
	ds_read_b128 v[4:7], v200 offset:512
	;; [unrolled: 1-line block ×4, first 2 shown]
	s_waitcnt lgkmcnt(2)
	v_add_f64 v[48:49], v[4:5], v[0:1]
	v_add_f64 v[50:51], v[6:7], v[2:3]
	v_add_f64 v[36:37], v[4:5], -v[0:1]
	v_add_f64 v[38:39], v[6:7], -v[2:3]
	ds_read_b128 v[0:3], v200 offset:2560
	ds_read_b128 v[4:7], v200 offset:1024
	;; [unrolled: 1-line block ×4, first 2 shown]
	s_waitcnt lgkmcnt(4)
	v_add_f64 v[235:236], v[8:9], v[12:13]
	v_add_f64 v[239:240], v[8:9], -v[12:13]
	v_add_f64 v[237:238], v[10:11], v[14:15]
	v_add_f64 v[241:242], v[10:11], -v[14:15]
	s_waitcnt lgkmcnt(2)
	v_add_f64 v[40:41], v[4:5], v[0:1]
	v_add_f64 v[42:43], v[6:7], v[2:3]
	v_add_f64 v[44:45], v[4:5], -v[0:1]
	v_add_f64 v[46:47], v[6:7], -v[2:3]
	ds_read_b128 v[0:3], v200 offset:2048
	ds_read_b128 v[4:7], v200 offset:1536
	;; [unrolled: 1-line block ×4, first 2 shown]
	s_waitcnt lgkmcnt(4)
	v_add_f64 v[243:244], v[16:17], v[20:21]
	v_add_f64 v[247:248], v[16:17], -v[20:21]
	v_add_f64 v[245:246], v[18:19], v[22:23]
	v_add_f64 v[249:250], v[18:19], -v[22:23]
	s_waitcnt lgkmcnt(2)
	v_add_f64 v[205:206], v[4:5], v[0:1]
	v_add_f64 v[230:231], v[0:1], -v[4:5]
	v_add_f64 v[0:1], v[40:41], v[48:49]
	v_add_f64 v[207:208], v[6:7], v[2:3]
	v_add_f64 v[232:233], v[2:3], -v[6:7]
	s_waitcnt lgkmcnt(0)
	v_add_f64 v[251:252], v[24:25], v[28:29]
	v_add_f64 v[60:61], v[28:29], -v[24:25]
	v_add_f64 v[20:21], v[44:45], -v[36:37]
	v_add_f64 v[56:57], v[26:27], v[30:31]
	v_add_f64 v[52:53], v[30:31], -v[26:27]
	v_add_f64 v[16:17], v[40:41], -v[48:49]
	v_add_f64 v[30:31], v[46:47], -v[38:39]
	v_add_f64 v[18:19], v[42:43], -v[50:51]
	v_add_f64 v[24:25], v[205:206], -v[40:41]
	v_add_f64 v[14:15], v[230:231], -v[44:45]
	v_add_f64 v[8:9], v[205:206], v[0:1]
	v_add_f64 v[0:1], v[42:43], v[50:51]
	;; [unrolled: 1-line block ×3, first 2 shown]
	v_add_f64 v[28:29], v[232:233], -v[46:47]
	v_add_f64 v[26:27], v[207:208], -v[42:43]
	v_add_f64 v[22:23], v[232:233], v[46:47]
	v_mul_f64 v[44:45], v[14:15], s[22:23]
	v_add_f64 v[10:11], v[207:208], v[0:1]
	ds_read_b128 v[0:3], v201
	ds_read_b128 v[32:35], v200 offset:256
	v_add_f64 v[40:41], v[12:13], v[36:37]
	v_mul_f64 v[28:29], v[28:29], s[22:23]
	v_mul_f64 v[12:13], v[24:25], s[12:13]
	v_add_f64 v[42:43], v[22:23], v[38:39]
	v_mul_f64 v[14:15], v[26:27], s[12:13]
	v_add_f64 v[36:37], v[36:37], -v[230:231]
	v_add_f64 v[38:39], v[38:39], -v[232:233]
	s_waitcnt lgkmcnt(0)
	s_barrier
	buffer_gl0_inv
	v_add_f64 v[4:5], v[0:1], v[8:9]
	v_add_f64 v[6:7], v[2:3], v[10:11]
	v_fma_f64 v[12:13], v[16:17], s[20:21], -v[12:13]
	v_fma_f64 v[14:15], v[18:19], s[20:21], -v[14:15]
	v_fma_f64 v[46:47], v[8:9], s[8:9], v[4:5]
	v_fma_f64 v[8:9], v[20:21], s[18:19], -v[44:45]
	v_fma_f64 v[54:55], v[10:11], s[8:9], v[6:7]
	v_mul_f64 v[20:21], v[20:21], s[16:17]
	v_add_f64 v[2:3], v[12:13], v[46:47]
	v_fma_f64 v[22:23], v[40:41], s[14:15], v[8:9]
	v_fma_f64 v[8:9], v[30:31], s[18:19], -v[28:29]
	v_add_f64 v[14:15], v[14:15], v[54:55]
	v_fma_f64 v[20:21], v[36:37], s[30:31], v[20:21]
	v_fma_f64 v[28:29], v[38:39], s[24:25], v[28:29]
	;; [unrolled: 1-line block ×3, first 2 shown]
	v_add_f64 v[10:11], v[22:23], v[14:15]
	v_add_f64 v[14:15], v[14:15], -v[22:23]
	v_mul_f64 v[22:23], v[30:31], s[16:17]
	v_fma_f64 v[30:31], v[40:41], s[14:15], v[20:21]
	v_fma_f64 v[28:29], v[42:43], s[14:15], v[28:29]
	v_add_f64 v[8:9], v[2:3], -v[0:1]
	v_add_f64 v[12:13], v[2:3], v[0:1]
	v_add_f64 v[0:1], v[48:49], -v[205:206]
	v_add_f64 v[2:3], v[50:51], -v[207:208]
	v_fma_f64 v[22:23], v[38:39], s[30:31], v[22:23]
	v_mul_f64 v[0:1], v[0:1], s[26:27]
	v_mul_f64 v[2:3], v[2:3], s[26:27]
	v_fma_f64 v[20:21], v[42:43], s[14:15], v[22:23]
	v_add_f64 v[42:43], v[241:242], -v[52:53]
	v_fma_f64 v[16:17], v[16:17], s[28:29], -v[0:1]
	v_fma_f64 v[18:19], v[18:19], s[28:29], -v[2:3]
	v_fma_f64 v[0:1], v[24:25], s[12:13], v[0:1]
	v_fma_f64 v[2:3], v[26:27], s[12:13], v[2:3]
	v_add_f64 v[22:23], v[16:17], v[46:47]
	v_add_f64 v[48:49], v[18:19], v[54:55]
	;; [unrolled: 1-line block ×5, first 2 shown]
	v_add_f64 v[18:19], v[48:49], -v[30:31]
	v_add_f64 v[20:21], v[22:23], -v[20:21]
	v_add_f64 v[22:23], v[30:31], v[48:49]
	v_fma_f64 v[30:31], v[36:37], s[24:25], v[44:45]
	v_add_f64 v[24:25], v[0:1], v[28:29]
	v_add_f64 v[28:29], v[0:1], -v[28:29]
	v_add_f64 v[0:1], v[243:244], v[235:236]
	v_fma_f64 v[30:31], v[40:41], s[14:15], v[30:31]
	v_add_f64 v[40:41], v[239:240], -v[60:61]
	v_add_f64 v[26:27], v[2:3], -v[30:31]
	v_add_f64 v[30:31], v[30:31], v[2:3]
	ds_write_b128 v203, v[4:7]
	ds_write_b128 v203, v[24:27] offset:16
	ds_write_b128 v203, v[16:19] offset:32
	;; [unrolled: 1-line block ×6, first 2 shown]
	v_add_f64 v[4:5], v[251:252], v[0:1]
	v_add_f64 v[0:1], v[245:246], v[237:238]
	v_add_f64 v[10:11], v[60:61], -v[247:248]
	v_add_f64 v[20:21], v[251:252], -v[243:244]
	;; [unrolled: 1-line block ×3, first 2 shown]
	v_add_f64 v[8:9], v[60:61], v[247:248]
	v_add_f64 v[16:17], v[247:248], -v[239:240]
	v_add_f64 v[24:25], v[52:53], -v[249:250]
	;; [unrolled: 1-line block ×4, first 2 shown]
	v_add_f64 v[18:19], v[52:53], v[249:250]
	v_add_f64 v[26:27], v[249:250], -v[241:242]
	v_add_f64 v[6:7], v[56:57], v[0:1]
	v_add_f64 v[0:1], v[32:33], v[4:5]
	v_mul_f64 v[32:33], v[10:11], s[22:23]
	v_mul_f64 v[10:11], v[22:23], s[12:13]
	v_add_f64 v[28:29], v[8:9], v[239:240]
	v_mul_f64 v[8:9], v[20:21], s[12:13]
	v_mul_f64 v[24:25], v[24:25], s[22:23]
	v_add_f64 v[30:31], v[18:19], v[241:242]
	v_add_f64 v[2:3], v[34:35], v[6:7]
	v_fma_f64 v[34:35], v[4:5], s[8:9], v[0:1]
	v_fma_f64 v[4:5], v[16:17], s[18:19], -v[32:33]
	v_fma_f64 v[10:11], v[14:15], s[20:21], -v[10:11]
	v_mul_f64 v[16:17], v[16:17], s[16:17]
	v_fma_f64 v[8:9], v[12:13], s[20:21], -v[8:9]
	v_fma_f64 v[36:37], v[6:7], s[8:9], v[2:3]
	v_fma_f64 v[18:19], v[28:29], s[14:15], v[4:5]
	v_fma_f64 v[4:5], v[26:27], s[18:19], -v[24:25]
	v_mul_f64 v[26:27], v[26:27], s[16:17]
	v_add_f64 v[8:9], v[8:9], v[34:35]
	v_fma_f64 v[16:17], v[40:41], s[30:31], v[16:17]
	v_fma_f64 v[24:25], v[42:43], s[24:25], v[24:25]
	v_add_f64 v[10:11], v[10:11], v[36:37]
	v_fma_f64 v[38:39], v[30:31], s[14:15], v[4:5]
	v_fma_f64 v[24:25], v[30:31], s[14:15], v[24:25]
	v_add_f64 v[6:7], v[18:19], v[10:11]
	v_add_f64 v[10:11], v[10:11], -v[18:19]
	v_add_f64 v[18:19], v[235:236], -v[251:252]
	v_add_f64 v[4:5], v[8:9], -v[38:39]
	v_add_f64 v[8:9], v[8:9], v[38:39]
	v_add_f64 v[38:39], v[237:238], -v[56:57]
	v_mul_f64 v[44:45], v[18:19], s[26:27]
	v_fma_f64 v[18:19], v[42:43], s[30:31], v[26:27]
	v_fma_f64 v[26:27], v[28:29], s[14:15], v[16:17]
	v_mul_f64 v[38:39], v[38:39], s[26:27]
	v_fma_f64 v[12:13], v[12:13], s[28:29], -v[44:45]
	v_fma_f64 v[16:17], v[30:31], s[14:15], v[18:19]
	v_fma_f64 v[20:21], v[20:21], s[12:13], v[44:45]
	v_fma_f64 v[14:15], v[14:15], s[28:29], -v[38:39]
	v_fma_f64 v[22:23], v[22:23], s[12:13], v[38:39]
	v_add_f64 v[18:19], v[12:13], v[34:35]
	v_add_f64 v[46:47], v[14:15], v[36:37]
	;; [unrolled: 1-line block ×4, first 2 shown]
	v_add_f64 v[16:17], v[18:19], -v[16:17]
	v_add_f64 v[14:15], v[46:47], -v[26:27]
	v_add_f64 v[18:19], v[26:27], v[46:47]
	v_fma_f64 v[26:27], v[40:41], s[24:25], v[32:33]
	v_fma_f64 v[26:27], v[28:29], s[14:15], v[26:27]
	v_add_f64 v[28:29], v[20:21], v[34:35]
	v_add_f64 v[22:23], v[30:31], -v[26:27]
	v_add_f64 v[20:21], v[28:29], v[24:25]
	v_add_f64 v[24:25], v[28:29], -v[24:25]
	v_add_f64 v[26:27], v[26:27], v[30:31]
	ds_write_b128 v255, v[0:3]
	ds_write_b128 v255, v[20:23] offset:16
	ds_write_b128 v255, v[12:15] offset:32
	;; [unrolled: 1-line block ×6, first 2 shown]
	s_waitcnt lgkmcnt(0)
	s_barrier
	buffer_gl0_inv
	ds_read_b128 v[0:3], v200 offset:1792
	ds_read_b128 v[4:7], v200 offset:1536
	s_waitcnt lgkmcnt(1)
	v_mul_f64 v[8:9], v[98:99], v[2:3]
	v_fma_f64 v[12:13], v[96:97], v[0:1], v[8:9]
	v_mul_f64 v[0:1], v[98:99], v[0:1]
	v_fma_f64 v[14:15], v[96:97], v[2:3], -v[0:1]
	ds_read_b128 v[0:3], v200 offset:2048
	ds_read_b128 v[8:11], v200 offset:2304
	s_waitcnt lgkmcnt(1)
	v_mul_f64 v[16:17], v[94:95], v[2:3]
	v_fma_f64 v[32:33], v[92:93], v[0:1], v[16:17]
	v_mul_f64 v[0:1], v[94:95], v[0:1]
	v_fma_f64 v[34:35], v[92:93], v[2:3], -v[0:1]
	s_waitcnt lgkmcnt(0)
	v_mul_f64 v[0:1], v[146:147], v[10:11]
	v_fma_f64 v[36:37], v[144:145], v[8:9], v[0:1]
	v_mul_f64 v[0:1], v[146:147], v[8:9]
	v_fma_f64 v[38:39], v[144:145], v[10:11], -v[0:1]
	ds_read_b128 v[0:3], v200 offset:2560
	ds_read_b128 v[8:11], v200 offset:2816
	s_waitcnt lgkmcnt(1)
	v_mul_f64 v[16:17], v[138:139], v[2:3]
	v_fma_f64 v[40:41], v[136:137], v[0:1], v[16:17]
	v_mul_f64 v[0:1], v[138:139], v[0:1]
	v_fma_f64 v[42:43], v[136:137], v[2:3], -v[0:1]
	;; [unrolled: 12-line block ×3, first 2 shown]
	s_waitcnt lgkmcnt(0)
	v_mul_f64 v[0:1], v[174:175], v[10:11]
	v_fma_f64 v[52:53], v[172:173], v[8:9], v[0:1]
	v_mul_f64 v[0:1], v[174:175], v[8:9]
	v_fma_f64 v[54:55], v[172:173], v[10:11], -v[0:1]
	ds_read_b128 v[0:3], v201
	ds_read_b128 v[8:11], v200 offset:256
	ds_read_b128 v[16:19], v200 offset:512
	;; [unrolled: 1-line block ×5, first 2 shown]
	s_waitcnt lgkmcnt(0)
	s_barrier
	buffer_gl0_inv
	buffer_load_dword v56, off, s[36:39], 0 offset:200 ; 4-byte Folded Reload
	v_add_f64 v[12:13], v[0:1], -v[12:13]
	v_add_f64 v[14:15], v[2:3], -v[14:15]
	v_fma_f64 v[0:1], v[0:1], 2.0, -v[12:13]
	v_fma_f64 v[2:3], v[2:3], 2.0, -v[14:15]
	s_waitcnt vmcnt(0)
	ds_write_b128 v56, v[12:15] offset:112
	ds_write_b128 v56, v[0:3]
	buffer_load_dword v12, off, s[36:39], 0 offset:196 ; 4-byte Folded Reload
	v_add_f64 v[0:1], v[8:9], -v[32:33]
	v_add_f64 v[2:3], v[10:11], -v[34:35]
	v_fma_f64 v[8:9], v[8:9], 2.0, -v[0:1]
	v_fma_f64 v[10:11], v[10:11], 2.0, -v[2:3]
	s_waitcnt vmcnt(0)
	ds_write_b128 v12, v[8:11]
	ds_write_b128 v12, v[0:3] offset:112
	buffer_load_dword v12, off, s[36:39], 0 offset:192 ; 4-byte Folded Reload
	v_add_f64 v[0:1], v[16:17], -v[36:37]
	v_add_f64 v[2:3], v[18:19], -v[38:39]
	v_fma_f64 v[8:9], v[16:17], 2.0, -v[0:1]
	v_fma_f64 v[10:11], v[18:19], 2.0, -v[2:3]
	s_waitcnt vmcnt(0)
	ds_write_b128 v12, v[8:11]
	ds_write_b128 v12, v[0:3] offset:112
	;; [unrolled: 8-line block ×6, first 2 shown]
	s_waitcnt lgkmcnt(0)
	s_barrier
	buffer_gl0_inv
	ds_read_b128 v[0:3], v200 offset:1792
	ds_read_b128 v[4:7], v200 offset:1536
	s_waitcnt lgkmcnt(1)
	v_mul_f64 v[8:9], v[106:107], v[2:3]
	v_fma_f64 v[12:13], v[104:105], v[0:1], v[8:9]
	v_mul_f64 v[0:1], v[106:107], v[0:1]
	v_fma_f64 v[14:15], v[104:105], v[2:3], -v[0:1]
	ds_read_b128 v[0:3], v200 offset:2048
	ds_read_b128 v[8:11], v200 offset:2304
	s_waitcnt lgkmcnt(1)
	v_mul_f64 v[16:17], v[102:103], v[2:3]
	v_fma_f64 v[32:33], v[100:101], v[0:1], v[16:17]
	v_mul_f64 v[0:1], v[102:103], v[0:1]
	v_fma_f64 v[34:35], v[100:101], v[2:3], -v[0:1]
	s_waitcnt lgkmcnt(0)
	v_mul_f64 v[0:1], v[150:151], v[10:11]
	v_fma_f64 v[36:37], v[148:149], v[8:9], v[0:1]
	v_mul_f64 v[0:1], v[150:151], v[8:9]
	v_fma_f64 v[38:39], v[148:149], v[10:11], -v[0:1]
	ds_read_b128 v[0:3], v200 offset:2560
	ds_read_b128 v[8:11], v200 offset:2816
	s_waitcnt lgkmcnt(1)
	v_mul_f64 v[16:17], v[142:143], v[2:3]
	v_fma_f64 v[40:41], v[140:141], v[0:1], v[16:17]
	v_mul_f64 v[0:1], v[142:143], v[0:1]
	v_fma_f64 v[42:43], v[140:141], v[2:3], -v[0:1]
	;; [unrolled: 12-line block ×3, first 2 shown]
	s_waitcnt lgkmcnt(0)
	v_mul_f64 v[0:1], v[170:171], v[10:11]
	v_fma_f64 v[52:53], v[168:169], v[8:9], v[0:1]
	v_mul_f64 v[0:1], v[170:171], v[8:9]
	v_fma_f64 v[54:55], v[168:169], v[10:11], -v[0:1]
	ds_read_b128 v[0:3], v201
	ds_read_b128 v[8:11], v200 offset:256
	ds_read_b128 v[16:19], v200 offset:512
	;; [unrolled: 1-line block ×5, first 2 shown]
	s_waitcnt lgkmcnt(0)
	s_barrier
	buffer_gl0_inv
	buffer_load_dword v56, off, s[36:39], 0 offset:204 ; 4-byte Folded Reload
	v_add_f64 v[12:13], v[0:1], -v[12:13]
	v_add_f64 v[14:15], v[2:3], -v[14:15]
	v_fma_f64 v[0:1], v[0:1], 2.0, -v[12:13]
	v_fma_f64 v[2:3], v[2:3], 2.0, -v[14:15]
	s_waitcnt vmcnt(0)
	ds_write_b128 v56, v[12:15] offset:224
	ds_write_b128 v56, v[0:3]
	buffer_load_dword v12, off, s[36:39], 0 offset:212 ; 4-byte Folded Reload
	v_add_f64 v[0:1], v[8:9], -v[32:33]
	v_add_f64 v[2:3], v[10:11], -v[34:35]
	v_fma_f64 v[8:9], v[8:9], 2.0, -v[0:1]
	v_fma_f64 v[10:11], v[10:11], 2.0, -v[2:3]
	s_waitcnt vmcnt(0)
	ds_write_b128 v12, v[8:11]
	ds_write_b128 v12, v[0:3] offset:224
	buffer_load_dword v12, off, s[36:39], 0 offset:208 ; 4-byte Folded Reload
	v_add_f64 v[0:1], v[16:17], -v[36:37]
	v_add_f64 v[2:3], v[18:19], -v[38:39]
	v_fma_f64 v[8:9], v[16:17], 2.0, -v[0:1]
	v_fma_f64 v[10:11], v[18:19], 2.0, -v[2:3]
	s_waitcnt vmcnt(0)
	ds_write_b128 v12, v[8:11]
	ds_write_b128 v12, v[0:3] offset:224
	buffer_load_dword v12, off, s[36:39], 0 offset:228 ; 4-byte Folded Reload
	v_add_f64 v[0:1], v[20:21], -v[40:41]
	v_add_f64 v[2:3], v[22:23], -v[42:43]
	v_fma_f64 v[8:9], v[20:21], 2.0, -v[0:1]
	v_fma_f64 v[10:11], v[22:23], 2.0, -v[2:3]
	s_waitcnt vmcnt(0)
	ds_write_b128 v12, v[8:11]
	ds_write_b128 v12, v[0:3] offset:224
	buffer_load_dword v12, off, s[36:39], 0 offset:224 ; 4-byte Folded Reload
	v_add_f64 v[0:1], v[24:25], -v[44:45]
	v_add_f64 v[2:3], v[26:27], -v[46:47]
	v_fma_f64 v[8:9], v[24:25], 2.0, -v[0:1]
	v_fma_f64 v[10:11], v[26:27], 2.0, -v[2:3]
	s_waitcnt vmcnt(0)
	ds_write_b128 v12, v[8:11]
	ds_write_b128 v12, v[0:3] offset:224
	buffer_load_dword v12, off, s[36:39], 0 offset:220 ; 4-byte Folded Reload
	v_add_f64 v[0:1], v[28:29], -v[48:49]
	v_add_f64 v[2:3], v[30:31], -v[50:51]
	v_fma_f64 v[8:9], v[28:29], 2.0, -v[0:1]
	v_fma_f64 v[10:11], v[30:31], 2.0, -v[2:3]
	s_waitcnt vmcnt(0)
	ds_write_b128 v12, v[8:11]
	ds_write_b128 v12, v[0:3] offset:224
	buffer_load_dword v8, off, s[36:39], 0 offset:216 ; 4-byte Folded Reload
	v_add_f64 v[0:1], v[4:5], -v[52:53]
	v_add_f64 v[2:3], v[6:7], -v[54:55]
	v_fma_f64 v[4:5], v[4:5], 2.0, -v[0:1]
	v_fma_f64 v[6:7], v[6:7], 2.0, -v[2:3]
	s_waitcnt vmcnt(0)
	ds_write_b128 v8, v[4:7]
	ds_write_b128 v8, v[0:3] offset:224
	s_waitcnt lgkmcnt(0)
	s_barrier
	buffer_gl0_inv
	ds_read_b128 v[0:3], v200 offset:1792
	ds_read_b128 v[4:7], v200 offset:1536
	s_waitcnt lgkmcnt(1)
	v_mul_f64 v[8:9], v[110:111], v[2:3]
	v_fma_f64 v[12:13], v[108:109], v[0:1], v[8:9]
	v_mul_f64 v[0:1], v[110:111], v[0:1]
	v_fma_f64 v[14:15], v[108:109], v[2:3], -v[0:1]
	ds_read_b128 v[0:3], v200 offset:2048
	ds_read_b128 v[8:11], v200 offset:2304
	s_waitcnt lgkmcnt(1)
	v_mul_f64 v[16:17], v[182:183], v[2:3]
	v_fma_f64 v[16:17], v[180:181], v[0:1], v[16:17]
	v_mul_f64 v[0:1], v[182:183], v[0:1]
	v_fma_f64 v[18:19], v[180:181], v[2:3], -v[0:1]
	s_waitcnt lgkmcnt(0)
	v_mul_f64 v[0:1], v[134:135], v[10:11]
	v_fma_f64 v[36:37], v[132:133], v[8:9], v[0:1]
	v_mul_f64 v[0:1], v[134:135], v[8:9]
	v_fma_f64 v[38:39], v[132:133], v[10:11], -v[0:1]
	ds_read_b128 v[0:3], v200 offset:2560
	ds_read_b128 v[8:11], v200 offset:2816
	s_waitcnt lgkmcnt(1)
	v_mul_f64 v[20:21], v[178:179], v[2:3]
	v_fma_f64 v[40:41], v[176:177], v[0:1], v[20:21]
	v_mul_f64 v[0:1], v[178:179], v[0:1]
	v_fma_f64 v[42:43], v[176:177], v[2:3], -v[0:1]
	;; [unrolled: 12-line block ×3, first 2 shown]
	s_waitcnt lgkmcnt(0)
	v_mul_f64 v[0:1], v[194:195], v[10:11]
	v_fma_f64 v[52:53], v[192:193], v[8:9], v[0:1]
	v_mul_f64 v[0:1], v[194:195], v[8:9]
	v_fma_f64 v[54:55], v[192:193], v[10:11], -v[0:1]
	ds_read_b128 v[0:3], v201
	ds_read_b128 v[8:11], v200 offset:256
	ds_read_b128 v[20:23], v200 offset:512
	;; [unrolled: 1-line block ×5, first 2 shown]
	s_waitcnt lgkmcnt(0)
	s_barrier
	buffer_gl0_inv
	v_add_f64 v[12:13], v[0:1], -v[12:13]
	v_add_f64 v[14:15], v[2:3], -v[14:15]
	;; [unrolled: 1-line block ×4, first 2 shown]
	v_fma_f64 v[0:1], v[0:1], 2.0, -v[12:13]
	v_fma_f64 v[2:3], v[2:3], 2.0, -v[14:15]
	;; [unrolled: 1-line block ×4, first 2 shown]
	ds_write_b128 v201, v[12:15] offset:448
	ds_write_b128 v201, v[0:3]
	ds_write_b128 v229, v[8:11]
	ds_write_b128 v229, v[16:19] offset:448
	v_add_f64 v[0:1], v[20:21], -v[36:37]
	v_add_f64 v[2:3], v[22:23], -v[38:39]
	;; [unrolled: 1-line block ×4, first 2 shown]
	v_fma_f64 v[8:9], v[20:21], 2.0, -v[0:1]
	v_fma_f64 v[10:11], v[22:23], 2.0, -v[2:3]
	;; [unrolled: 1-line block ×4, first 2 shown]
	ds_write_b128 v201, v[8:11] offset:960
	ds_write_b128 v201, v[0:3] offset:1408
	ds_write_b128 v63, v[16:19]
	ds_write_b128 v63, v[12:15] offset:448
	v_add_f64 v[0:1], v[28:29], -v[44:45]
	v_add_f64 v[2:3], v[30:31], -v[46:47]
	v_fma_f64 v[8:9], v[28:29], 2.0, -v[0:1]
	v_fma_f64 v[10:11], v[30:31], 2.0, -v[2:3]
	ds_write_b128 v62, v[8:11] offset:1792
	ds_write_b128 v62, v[0:3] offset:2240
	v_add_f64 v[0:1], v[32:33], -v[48:49]
	v_add_f64 v[2:3], v[34:35], -v[50:51]
	v_fma_f64 v[8:9], v[32:33], 2.0, -v[0:1]
	v_fma_f64 v[10:11], v[34:35], 2.0, -v[2:3]
	ds_write_b128 v59, v[8:11]
	ds_write_b128 v59, v[0:3] offset:448
	v_add_f64 v[0:1], v[4:5], -v[52:53]
	v_add_f64 v[2:3], v[6:7], -v[54:55]
	v_fma_f64 v[4:5], v[4:5], 2.0, -v[0:1]
	v_fma_f64 v[6:7], v[6:7], 2.0, -v[2:3]
	ds_write_b128 v58, v[4:7] offset:2688
	ds_write_b128 v58, v[0:3] offset:3136
	s_waitcnt lgkmcnt(0)
	s_barrier
	buffer_gl0_inv
	ds_read_b128 v[92:95], v200 offset:1792
	ds_read_b128 v[0:3], v200 offset:1536
	s_waitcnt lgkmcnt(1)
	v_mul_f64 v[4:5], v[198:199], v[94:95]
	v_fma_f64 v[12:13], v[196:197], v[92:93], v[4:5]
	v_mul_f64 v[4:5], v[198:199], v[92:93]
	v_fma_f64 v[14:15], v[196:197], v[94:95], -v[4:5]
	ds_read_b128 v[4:7], v200 offset:2048
	ds_read_b128 v[8:11], v200 offset:2304
	s_waitcnt lgkmcnt(1)
	v_mul_f64 v[16:17], v[82:83], v[6:7]
	v_fma_f64 v[16:17], v[80:81], v[4:5], v[16:17]
	v_mul_f64 v[4:5], v[82:83], v[4:5]
	v_fma_f64 v[18:19], v[80:81], v[6:7], -v[4:5]
	s_waitcnt lgkmcnt(0)
	v_mul_f64 v[4:5], v[86:87], v[10:11]
	v_fma_f64 v[28:29], v[84:85], v[8:9], v[4:5]
	v_mul_f64 v[4:5], v[86:87], v[8:9]
	v_fma_f64 v[30:31], v[84:85], v[10:11], -v[4:5]
	ds_read_b128 v[4:7], v200 offset:2560
	ds_read_b128 v[8:11], v200 offset:2816
	s_waitcnt lgkmcnt(1)
	v_mul_f64 v[20:21], v[90:91], v[6:7]
	v_fma_f64 v[32:33], v[88:89], v[4:5], v[20:21]
	v_mul_f64 v[4:5], v[90:91], v[4:5]
	v_fma_f64 v[34:35], v[88:89], v[6:7], -v[4:5]
	;; [unrolled: 12-line block ×3, first 2 shown]
	s_waitcnt lgkmcnt(0)
	v_mul_f64 v[4:5], v[78:79], v[10:11]
	v_fma_f64 v[52:53], v[76:77], v[8:9], v[4:5]
	v_mul_f64 v[4:5], v[78:79], v[8:9]
	v_fma_f64 v[54:55], v[76:77], v[10:11], -v[4:5]
	ds_read_b128 v[4:7], v201
	ds_read_b128 v[8:11], v200 offset:256
	ds_read_b128 v[20:23], v200 offset:512
	;; [unrolled: 1-line block ×5, first 2 shown]
	s_waitcnt lgkmcnt(0)
	s_barrier
	buffer_gl0_inv
	v_add_f64 v[12:13], v[4:5], -v[12:13]
	v_add_f64 v[14:15], v[6:7], -v[14:15]
	;; [unrolled: 1-line block ×8, first 2 shown]
	v_fma_f64 v[4:5], v[4:5], 2.0, -v[12:13]
	v_fma_f64 v[6:7], v[6:7], 2.0, -v[14:15]
	;; [unrolled: 1-line block ×8, first 2 shown]
	ds_write_b128 v201, v[12:15] offset:896
	ds_write_b128 v201, v[4:7]
	ds_write_b128 v200, v[8:11] offset:256
	ds_write_b128 v201, v[16:19] offset:1152
	ds_write_b128 v200, v[20:23] offset:512
	ds_write_b128 v201, v[28:31] offset:1408
	ds_write_b128 v234, v[24:27]
	ds_write_b128 v234, v[32:35] offset:896
	v_add_f64 v[4:5], v[36:37], -v[44:45]
	v_add_f64 v[6:7], v[38:39], -v[46:47]
	;; [unrolled: 1-line block ×6, first 2 shown]
	v_fma_f64 v[8:9], v[36:37], 2.0, -v[4:5]
	v_fma_f64 v[10:11], v[38:39], 2.0, -v[6:7]
	;; [unrolled: 1-line block ×6, first 2 shown]
	ds_write_b128 v201, v[8:11] offset:1920
	ds_write_b128 v201, v[4:7] offset:2816
	;; [unrolled: 1-line block ×6, first 2 shown]
	s_waitcnt lgkmcnt(0)
	s_barrier
	buffer_gl0_inv
	ds_read_b128 v[0:3], v200 offset:1792
	ds_read_b128 v[4:7], v200 offset:1536
	s_waitcnt lgkmcnt(1)
	v_mul_f64 v[8:9], v[66:67], v[2:3]
	v_fma_f64 v[12:13], v[64:65], v[0:1], v[8:9]
	v_mul_f64 v[0:1], v[66:67], v[0:1]
	v_fma_f64 v[14:15], v[64:65], v[2:3], -v[0:1]
	ds_read_b128 v[0:3], v200 offset:2048
	ds_read_b128 v[8:11], v200 offset:2304
	s_waitcnt lgkmcnt(1)
	v_mul_f64 v[16:17], v[70:71], v[2:3]
	v_fma_f64 v[16:17], v[68:69], v[0:1], v[16:17]
	v_mul_f64 v[0:1], v[70:71], v[0:1]
	v_fma_f64 v[18:19], v[68:69], v[2:3], -v[0:1]
	s_waitcnt lgkmcnt(0)
	v_mul_f64 v[0:1], v[122:123], v[10:11]
	v_fma_f64 v[28:29], v[120:121], v[8:9], v[0:1]
	v_mul_f64 v[0:1], v[122:123], v[8:9]
	v_fma_f64 v[30:31], v[120:121], v[10:11], -v[0:1]
	ds_read_b128 v[0:3], v200 offset:2560
	ds_read_b128 v[8:11], v200 offset:2816
	s_waitcnt lgkmcnt(1)
	v_mul_f64 v[20:21], v[114:115], v[2:3]
	v_fma_f64 v[32:33], v[112:113], v[0:1], v[20:21]
	v_mul_f64 v[0:1], v[114:115], v[0:1]
	v_fma_f64 v[34:35], v[112:113], v[2:3], -v[0:1]
	;; [unrolled: 12-line block ×3, first 2 shown]
	s_waitcnt lgkmcnt(0)
	v_mul_f64 v[0:1], v[130:131], v[10:11]
	v_fma_f64 v[52:53], v[128:129], v[8:9], v[0:1]
	v_mul_f64 v[0:1], v[130:131], v[8:9]
	v_add_f64 v[60:61], v[4:5], -v[52:53]
	v_fma_f64 v[54:55], v[128:129], v[10:11], -v[0:1]
	ds_read_b128 v[0:3], v201
	ds_read_b128 v[8:11], v200 offset:256
	ds_read_b128 v[20:23], v200 offset:512
	;; [unrolled: 1-line block ×5, first 2 shown]
	s_waitcnt lgkmcnt(5)
	v_add_f64 v[12:13], v[0:1], -v[12:13]
	v_add_f64 v[14:15], v[2:3], -v[14:15]
	s_waitcnt lgkmcnt(4)
	v_add_f64 v[16:17], v[8:9], -v[16:17]
	v_add_f64 v[18:19], v[10:11], -v[18:19]
	s_waitcnt lgkmcnt(3)
	v_add_f64 v[28:29], v[20:21], -v[28:29]
	v_add_f64 v[30:31], v[22:23], -v[30:31]
	s_waitcnt lgkmcnt(2)
	v_add_f64 v[32:33], v[24:25], -v[32:33]
	v_add_f64 v[34:35], v[26:27], -v[34:35]
	s_waitcnt lgkmcnt(1)
	v_add_f64 v[44:45], v[36:37], -v[44:45]
	v_add_f64 v[46:47], v[38:39], -v[46:47]
	s_waitcnt lgkmcnt(0)
	v_add_f64 v[56:57], v[40:41], -v[48:49]
	v_add_f64 v[58:59], v[42:43], -v[50:51]
	v_add_f64 v[62:63], v[6:7], -v[54:55]
	v_fma_f64 v[4:5], v[4:5], 2.0, -v[60:61]
	v_fma_f64 v[0:1], v[0:1], 2.0, -v[12:13]
	;; [unrolled: 1-line block ×14, first 2 shown]
	ds_write_b128 v201, v[0:3]
	ds_write_b128 v200, v[12:15] offset:1792
	ds_write_b128 v200, v[8:11] offset:256
	;; [unrolled: 1-line block ×13, first 2 shown]
	s_waitcnt lgkmcnt(0)
	s_barrier
	buffer_gl0_inv
	ds_read_b128 v[0:3], v201
	ds_read_b128 v[4:7], v200 offset:256
	s_clause 0x3
	buffer_load_dword v12, off, s[36:39], 0 offset:128
	buffer_load_dword v13, off, s[36:39], 0 offset:132
	;; [unrolled: 1-line block ×4, first 2 shown]
	s_waitcnt vmcnt(0) lgkmcnt(1)
	v_mul_f64 v[8:9], v[14:15], v[2:3]
	v_mul_f64 v[10:11], v[14:15], v[0:1]
	v_fma_f64 v[32:33], v[12:13], v[0:1], v[8:9]
	v_fma_f64 v[34:35], v[12:13], v[2:3], -v[10:11]
	ds_read_b128 v[0:3], v200 offset:512
	ds_read_b128 v[8:11], v200 offset:768
	s_clause 0x3
	buffer_load_dword v14, off, s[36:39], 0 offset:144
	buffer_load_dword v15, off, s[36:39], 0 offset:148
	buffer_load_dword v16, off, s[36:39], 0 offset:152
	buffer_load_dword v17, off, s[36:39], 0 offset:156
	s_waitcnt vmcnt(0) lgkmcnt(1)
	v_mul_f64 v[12:13], v[16:17], v[2:3]
	v_fma_f64 v[36:37], v[14:15], v[0:1], v[12:13]
	v_mul_f64 v[0:1], v[16:17], v[0:1]
	v_fma_f64 v[38:39], v[14:15], v[2:3], -v[0:1]
	ds_read_b128 v[0:3], v200 offset:1024
	ds_read_b128 v[12:15], v200 offset:1280
	s_clause 0x3
	buffer_load_dword v18, off, s[36:39], 0 offset:112
	buffer_load_dword v19, off, s[36:39], 0 offset:116
	buffer_load_dword v20, off, s[36:39], 0 offset:120
	buffer_load_dword v21, off, s[36:39], 0 offset:124
	s_waitcnt vmcnt(0) lgkmcnt(1)
	v_mul_f64 v[16:17], v[20:21], v[2:3]
	v_fma_f64 v[40:41], v[18:19], v[0:1], v[16:17]
	v_mul_f64 v[0:1], v[20:21], v[0:1]
	;; [unrolled: 12-line block ×4, first 2 shown]
	v_fma_f64 v[50:51], v[26:27], v[2:3], -v[0:1]
	ds_read_b128 v[0:3], v200 offset:2560
	ds_read_b128 v[24:27], v200 offset:2816
	s_waitcnt lgkmcnt(1)
	v_mul_f64 v[28:29], v[223:224], v[2:3]
	v_fma_f64 v[52:53], v[221:222], v[0:1], v[28:29]
	v_mul_f64 v[0:1], v[223:224], v[0:1]
	v_fma_f64 v[54:55], v[221:222], v[2:3], -v[0:1]
	ds_read_b128 v[0:3], v200 offset:3072
	ds_read_b128 v[28:31], v200 offset:3328
	s_clause 0x3
	buffer_load_dword v62, off, s[36:39], 0 offset:16
	buffer_load_dword v63, off, s[36:39], 0 offset:20
	buffer_load_dword v64, off, s[36:39], 0 offset:24
	buffer_load_dword v65, off, s[36:39], 0 offset:28
	s_waitcnt lgkmcnt(1)
	v_mul_f64 v[56:57], v[219:220], v[2:3]
	v_fma_f64 v[56:57], v[217:218], v[0:1], v[56:57]
	v_mul_f64 v[0:1], v[219:220], v[0:1]
	v_fma_f64 v[58:59], v[217:218], v[2:3], -v[0:1]
	s_waitcnt vmcnt(0)
	v_mul_f64 v[0:1], v[64:65], v[6:7]
	v_fma_f64 v[60:61], v[62:63], v[4:5], v[0:1]
	v_mul_f64 v[0:1], v[64:65], v[4:5]
	s_clause 0x3
	buffer_load_dword v2, off, s[36:39], 0 offset:48
	buffer_load_dword v3, off, s[36:39], 0 offset:52
	buffer_load_dword v4, off, s[36:39], 0 offset:56
	buffer_load_dword v5, off, s[36:39], 0 offset:60
	v_fma_f64 v[62:63], v[62:63], v[6:7], -v[0:1]
	s_waitcnt vmcnt(0)
	v_mul_f64 v[0:1], v[4:5], v[10:11]
	v_fma_f64 v[64:65], v[2:3], v[8:9], v[0:1]
	v_mul_f64 v[0:1], v[4:5], v[8:9]
	v_fma_f64 v[66:67], v[2:3], v[10:11], -v[0:1]
	s_clause 0x3
	buffer_load_dword v2, off, s[36:39], 0 offset:64
	buffer_load_dword v3, off, s[36:39], 0 offset:68
	;; [unrolled: 1-line block ×4, first 2 shown]
	s_waitcnt vmcnt(0)
	v_mul_f64 v[0:1], v[4:5], v[14:15]
	v_fma_f64 v[68:69], v[2:3], v[12:13], v[0:1]
	v_mul_f64 v[0:1], v[4:5], v[12:13]
	v_fma_f64 v[70:71], v[2:3], v[14:15], -v[0:1]
	s_clause 0x3
	buffer_load_dword v2, off, s[36:39], 0 offset:96
	buffer_load_dword v3, off, s[36:39], 0 offset:100
	;; [unrolled: 1-line block ×4, first 2 shown]
	v_mul_f64 v[14:15], v[50:51], s[4:5]
	s_waitcnt vmcnt(0)
	v_mul_f64 v[0:1], v[4:5], v[18:19]
	v_fma_f64 v[72:73], v[2:3], v[16:17], v[0:1]
	v_mul_f64 v[0:1], v[4:5], v[16:17]
	v_mul_f64 v[4:5], v[215:216], v[20:21]
	;; [unrolled: 1-line block ×3, first 2 shown]
	v_fma_f64 v[74:75], v[2:3], v[18:19], -v[0:1]
	v_mad_u64_u32 v[0:1], null, s0, v204, 0
	v_fma_f64 v[78:79], v[213:214], v[22:23], -v[4:5]
	v_mul_f64 v[4:5], v[227:228], v[24:25]
	v_mul_f64 v[18:19], v[54:55], s[4:5]
	v_mad_u64_u32 v[1:2], null, s1, v204, v[1:2]
	s_clause 0x5
	buffer_load_dword v2, off, s[36:39], 0 offset:160
	buffer_load_dword v3, off, s[36:39], 0 offset:164
	buffer_load_dword v10, off, s[36:39], 0
	buffer_load_dword v11, off, s[36:39], 0 offset:4
	buffer_load_dword v12, off, s[36:39], 0 offset:8
	;; [unrolled: 1-line block ×3, first 2 shown]
	v_lshlrev_b64 v[0:1], 4, v[0:1]
	v_fma_f64 v[84:85], v[225:226], v[26:27], -v[4:5]
	v_mul_f64 v[4:5], v[40:41], s[4:5]
	s_waitcnt vmcnt(5)
	v_mov_b32_e32 v255, v2
	s_waitcnt vmcnt(4)
	v_mul_f64 v[2:3], v[215:216], v[22:23]
	s_waitcnt vmcnt(0) lgkmcnt(0)
	v_mul_f64 v[8:9], v[12:13], v[28:29]
	v_mul_f64 v[22:23], v[58:59], s[4:5]
	v_lshlrev_b64 v[6:7], 4, v[254:255]
	v_add_co_u32 v6, vcc_lo, s2, v6
	v_add_co_ci_u32_e32 v7, vcc_lo, s3, v7, vcc_lo
	s_lshl_b64 s[2:3], s[0:1], 9
	v_add_co_u32 v6, vcc_lo, v6, v0
	v_add_co_ci_u32_e32 v7, vcc_lo, v7, v1, vcc_lo
	v_mul_f64 v[0:1], v[12:13], v[30:31]
	v_add_co_u32 v80, vcc_lo, v6, s2
	v_fma_f64 v[76:77], v[213:214], v[20:21], v[2:3]
	v_mul_f64 v[2:3], v[227:228], v[26:27]
	v_add_co_ci_u32_e32 v81, vcc_lo, s3, v7, vcc_lo
	v_add_co_u32 v86, vcc_lo, v80, s2
	s_mulk_i32 s1, 0xf500
	v_add_co_ci_u32_e32 v87, vcc_lo, s3, v81, vcc_lo
	v_add_co_u32 v88, vcc_lo, v86, s2
	v_fma_f64 v[96:97], v[10:11], v[30:31], -v[8:9]
	v_add_co_ci_u32_e32 v89, vcc_lo, s3, v87, vcc_lo
	v_add_co_u32 v90, vcc_lo, v88, s2
	v_mul_f64 v[8:9], v[44:45], s[4:5]
	v_add_co_ci_u32_e32 v91, vcc_lo, s3, v89, vcc_lo
	v_add_co_u32 v92, vcc_lo, v90, s2
	v_fma_f64 v[94:95], v[10:11], v[28:29], v[0:1]
	v_add_co_ci_u32_e32 v93, vcc_lo, s3, v91, vcc_lo
	v_fma_f64 v[82:83], v[225:226], v[24:25], v[2:3]
	v_mul_f64 v[0:1], v[32:33], s[4:5]
	v_mul_f64 v[2:3], v[34:35], s[4:5]
	v_add_co_u32 v98, vcc_lo, v92, s2
	v_add_co_ci_u32_e32 v99, vcc_lo, s3, v93, vcc_lo
	v_mul_f64 v[10:11], v[46:47], s[4:5]
	v_mul_f64 v[12:13], v[48:49], s[4:5]
	;; [unrolled: 1-line block ×3, first 2 shown]
	v_mad_u64_u32 v[100:101], null, 0xfffff500, s0, v[98:99]
	s_sub_i32 s0, s1, s0
	v_mul_f64 v[24:25], v[60:61], s[4:5]
	v_mul_f64 v[26:27], v[62:63], s[4:5]
	;; [unrolled: 1-line block ×5, first 2 shown]
	v_add_nc_u32_e32 v101, s0, v101
	v_add_co_u32 v102, vcc_lo, v100, s2
	v_mul_f64 v[34:35], v[70:71], s[4:5]
	v_mul_f64 v[40:41], v[76:77], s[4:5]
	v_add_co_ci_u32_e32 v103, vcc_lo, s3, v101, vcc_lo
	global_store_dwordx4 v[6:7], v[0:3], off
	v_mul_f64 v[0:1], v[36:37], s[4:5]
	v_mul_f64 v[2:3], v[38:39], s[4:5]
	v_add_co_u32 v104, vcc_lo, v102, s2
	v_mul_f64 v[6:7], v[42:43], s[4:5]
	v_add_co_ci_u32_e32 v105, vcc_lo, s3, v103, vcc_lo
	v_add_co_u32 v106, vcc_lo, v104, s2
	v_mul_f64 v[36:37], v[72:73], s[4:5]
	v_add_co_ci_u32_e32 v107, vcc_lo, s3, v105, vcc_lo
	v_mul_f64 v[38:39], v[74:75], s[4:5]
	v_mul_f64 v[42:43], v[78:79], s[4:5]
	v_mul_f64 v[44:45], v[82:83], s[4:5]
	v_mul_f64 v[46:47], v[84:85], s[4:5]
	v_add_co_u32 v52, vcc_lo, v106, s2
	v_mul_f64 v[48:49], v[94:95], s[4:5]
	v_mul_f64 v[50:51], v[96:97], s[4:5]
	v_add_co_ci_u32_e32 v53, vcc_lo, s3, v107, vcc_lo
	v_add_co_u32 v54, vcc_lo, v52, s2
	global_store_dwordx4 v[80:81], v[0:3], off
	v_add_co_ci_u32_e32 v55, vcc_lo, s3, v53, vcc_lo
	v_add_co_u32 v0, vcc_lo, v54, s2
	v_add_co_ci_u32_e32 v1, vcc_lo, s3, v55, vcc_lo
	global_store_dwordx4 v[86:87], v[4:7], off
	global_store_dwordx4 v[88:89], v[8:11], off
	;; [unrolled: 1-line block ×12, first 2 shown]
.LBB0_2:
	s_endpgm
	.section	.rodata,"a",@progbits
	.p2align	6, 0x0
	.amdhsa_kernel bluestein_single_fwd_len224_dim1_dp_op_CI_CI
		.amdhsa_group_segment_fixed_size 14336
		.amdhsa_private_segment_fixed_size 236
		.amdhsa_kernarg_size 104
		.amdhsa_user_sgpr_count 6
		.amdhsa_user_sgpr_private_segment_buffer 1
		.amdhsa_user_sgpr_dispatch_ptr 0
		.amdhsa_user_sgpr_queue_ptr 0
		.amdhsa_user_sgpr_kernarg_segment_ptr 1
		.amdhsa_user_sgpr_dispatch_id 0
		.amdhsa_user_sgpr_flat_scratch_init 0
		.amdhsa_user_sgpr_private_segment_size 0
		.amdhsa_wavefront_size32 1
		.amdhsa_uses_dynamic_stack 0
		.amdhsa_system_sgpr_private_segment_wavefront_offset 1
		.amdhsa_system_sgpr_workgroup_id_x 1
		.amdhsa_system_sgpr_workgroup_id_y 0
		.amdhsa_system_sgpr_workgroup_id_z 0
		.amdhsa_system_sgpr_workgroup_info 0
		.amdhsa_system_vgpr_workitem_id 0
		.amdhsa_next_free_vgpr 256
		.amdhsa_next_free_sgpr 40
		.amdhsa_reserve_vcc 1
		.amdhsa_reserve_flat_scratch 0
		.amdhsa_float_round_mode_32 0
		.amdhsa_float_round_mode_16_64 0
		.amdhsa_float_denorm_mode_32 3
		.amdhsa_float_denorm_mode_16_64 3
		.amdhsa_dx10_clamp 1
		.amdhsa_ieee_mode 1
		.amdhsa_fp16_overflow 0
		.amdhsa_workgroup_processor_mode 1
		.amdhsa_memory_ordered 1
		.amdhsa_forward_progress 0
		.amdhsa_shared_vgpr_count 0
		.amdhsa_exception_fp_ieee_invalid_op 0
		.amdhsa_exception_fp_denorm_src 0
		.amdhsa_exception_fp_ieee_div_zero 0
		.amdhsa_exception_fp_ieee_overflow 0
		.amdhsa_exception_fp_ieee_underflow 0
		.amdhsa_exception_fp_ieee_inexact 0
		.amdhsa_exception_int_div_zero 0
	.end_amdhsa_kernel
	.text
.Lfunc_end0:
	.size	bluestein_single_fwd_len224_dim1_dp_op_CI_CI, .Lfunc_end0-bluestein_single_fwd_len224_dim1_dp_op_CI_CI
                                        ; -- End function
	.section	.AMDGPU.csdata,"",@progbits
; Kernel info:
; codeLenInByte = 16904
; NumSgprs: 42
; NumVgprs: 256
; ScratchSize: 236
; MemoryBound: 0
; FloatMode: 240
; IeeeMode: 1
; LDSByteSize: 14336 bytes/workgroup (compile time only)
; SGPRBlocks: 5
; VGPRBlocks: 31
; NumSGPRsForWavesPerEU: 42
; NumVGPRsForWavesPerEU: 256
; Occupancy: 4
; WaveLimiterHint : 1
; COMPUTE_PGM_RSRC2:SCRATCH_EN: 1
; COMPUTE_PGM_RSRC2:USER_SGPR: 6
; COMPUTE_PGM_RSRC2:TRAP_HANDLER: 0
; COMPUTE_PGM_RSRC2:TGID_X_EN: 1
; COMPUTE_PGM_RSRC2:TGID_Y_EN: 0
; COMPUTE_PGM_RSRC2:TGID_Z_EN: 0
; COMPUTE_PGM_RSRC2:TIDIG_COMP_CNT: 0
	.text
	.p2alignl 6, 3214868480
	.fill 48, 4, 3214868480
	.type	__hip_cuid_55d2b8d5e6dfc5c7,@object ; @__hip_cuid_55d2b8d5e6dfc5c7
	.section	.bss,"aw",@nobits
	.globl	__hip_cuid_55d2b8d5e6dfc5c7
__hip_cuid_55d2b8d5e6dfc5c7:
	.byte	0                               ; 0x0
	.size	__hip_cuid_55d2b8d5e6dfc5c7, 1

	.ident	"AMD clang version 19.0.0git (https://github.com/RadeonOpenCompute/llvm-project roc-6.4.0 25133 c7fe45cf4b819c5991fe208aaa96edf142730f1d)"
	.section	".note.GNU-stack","",@progbits
	.addrsig
	.addrsig_sym __hip_cuid_55d2b8d5e6dfc5c7
	.amdgpu_metadata
---
amdhsa.kernels:
  - .args:
      - .actual_access:  read_only
        .address_space:  global
        .offset:         0
        .size:           8
        .value_kind:     global_buffer
      - .actual_access:  read_only
        .address_space:  global
        .offset:         8
        .size:           8
        .value_kind:     global_buffer
      - .actual_access:  read_only
        .address_space:  global
        .offset:         16
        .size:           8
        .value_kind:     global_buffer
      - .actual_access:  read_only
        .address_space:  global
        .offset:         24
        .size:           8
        .value_kind:     global_buffer
      - .actual_access:  read_only
        .address_space:  global
        .offset:         32
        .size:           8
        .value_kind:     global_buffer
      - .offset:         40
        .size:           8
        .value_kind:     by_value
      - .address_space:  global
        .offset:         48
        .size:           8
        .value_kind:     global_buffer
      - .address_space:  global
        .offset:         56
        .size:           8
        .value_kind:     global_buffer
      - .address_space:  global
        .offset:         64
        .size:           8
        .value_kind:     global_buffer
      - .address_space:  global
        .offset:         72
        .size:           8
        .value_kind:     global_buffer
      - .offset:         80
        .size:           4
        .value_kind:     by_value
      - .address_space:  global
        .offset:         88
        .size:           8
        .value_kind:     global_buffer
      - .address_space:  global
        .offset:         96
        .size:           8
        .value_kind:     global_buffer
    .group_segment_fixed_size: 14336
    .kernarg_segment_align: 8
    .kernarg_segment_size: 104
    .language:       OpenCL C
    .language_version:
      - 2
      - 0
    .max_flat_workgroup_size: 64
    .name:           bluestein_single_fwd_len224_dim1_dp_op_CI_CI
    .private_segment_fixed_size: 236
    .sgpr_count:     42
    .sgpr_spill_count: 0
    .symbol:         bluestein_single_fwd_len224_dim1_dp_op_CI_CI.kd
    .uniform_work_group_size: 1
    .uses_dynamic_stack: false
    .vgpr_count:     256
    .vgpr_spill_count: 58
    .wavefront_size: 32
    .workgroup_processor_mode: 1
amdhsa.target:   amdgcn-amd-amdhsa--gfx1030
amdhsa.version:
  - 1
  - 2
...

	.end_amdgpu_metadata
